;; amdgpu-corpus repo=pytorch/pytorch kind=compiled arch=gfx90a opt=O3
	.text
	.amdgcn_target "amdgcn-amd-amdhsa--gfx90a"
	.amdhsa_code_object_version 6
	.section	.text._ZN7rocprim17ROCPRIM_304000_NS6detail28radix_sort_block_sort_kernelINS1_36wrapped_radix_sort_block_sort_configINS0_13kernel_configILj256ELj4ELj4294967295EEE12hip_bfloat16N2at4cuda3cub6detail10OpaqueTypeILi8EEEEELb1EPKS6_PS6_PKSC_PSC_NS0_19identity_decomposerEEEvT1_T2_T3_T4_jT5_jj,"axG",@progbits,_ZN7rocprim17ROCPRIM_304000_NS6detail28radix_sort_block_sort_kernelINS1_36wrapped_radix_sort_block_sort_configINS0_13kernel_configILj256ELj4ELj4294967295EEE12hip_bfloat16N2at4cuda3cub6detail10OpaqueTypeILi8EEEEELb1EPKS6_PS6_PKSC_PSC_NS0_19identity_decomposerEEEvT1_T2_T3_T4_jT5_jj,comdat
	.protected	_ZN7rocprim17ROCPRIM_304000_NS6detail28radix_sort_block_sort_kernelINS1_36wrapped_radix_sort_block_sort_configINS0_13kernel_configILj256ELj4ELj4294967295EEE12hip_bfloat16N2at4cuda3cub6detail10OpaqueTypeILi8EEEEELb1EPKS6_PS6_PKSC_PSC_NS0_19identity_decomposerEEEvT1_T2_T3_T4_jT5_jj ; -- Begin function _ZN7rocprim17ROCPRIM_304000_NS6detail28radix_sort_block_sort_kernelINS1_36wrapped_radix_sort_block_sort_configINS0_13kernel_configILj256ELj4ELj4294967295EEE12hip_bfloat16N2at4cuda3cub6detail10OpaqueTypeILi8EEEEELb1EPKS6_PS6_PKSC_PSC_NS0_19identity_decomposerEEEvT1_T2_T3_T4_jT5_jj
	.globl	_ZN7rocprim17ROCPRIM_304000_NS6detail28radix_sort_block_sort_kernelINS1_36wrapped_radix_sort_block_sort_configINS0_13kernel_configILj256ELj4ELj4294967295EEE12hip_bfloat16N2at4cuda3cub6detail10OpaqueTypeILi8EEEEELb1EPKS6_PS6_PKSC_PSC_NS0_19identity_decomposerEEEvT1_T2_T3_T4_jT5_jj
	.p2align	8
	.type	_ZN7rocprim17ROCPRIM_304000_NS6detail28radix_sort_block_sort_kernelINS1_36wrapped_radix_sort_block_sort_configINS0_13kernel_configILj256ELj4ELj4294967295EEE12hip_bfloat16N2at4cuda3cub6detail10OpaqueTypeILi8EEEEELb1EPKS6_PS6_PKSC_PSC_NS0_19identity_decomposerEEEvT1_T2_T3_T4_jT5_jj,@function
_ZN7rocprim17ROCPRIM_304000_NS6detail28radix_sort_block_sort_kernelINS1_36wrapped_radix_sort_block_sort_configINS0_13kernel_configILj256ELj4ELj4294967295EEE12hip_bfloat16N2at4cuda3cub6detail10OpaqueTypeILi8EEEEELb1EPKS6_PS6_PKSC_PSC_NS0_19identity_decomposerEEEvT1_T2_T3_T4_jT5_jj: ; @_ZN7rocprim17ROCPRIM_304000_NS6detail28radix_sort_block_sort_kernelINS1_36wrapped_radix_sort_block_sort_configINS0_13kernel_configILj256ELj4ELj4294967295EEE12hip_bfloat16N2at4cuda3cub6detail10OpaqueTypeILi8EEEEELb1EPKS6_PS6_PKSC_PSC_NS0_19identity_decomposerEEEvT1_T2_T3_T4_jT5_jj
; %bb.0:
	s_load_dword s2, s[4:5], 0x20
	s_load_dwordx8 s[36:43], s[4:5], 0x0
	s_lshl_b32 s28, s6, 10
	s_mov_b32 s29, 0
	v_mbcnt_lo_u32_b32 v1, -1, 0
	s_waitcnt lgkmcnt(0)
	s_lshr_b32 s0, s2, 10
	s_cmp_lg_u32 s6, s0
	s_cselect_b64 s[30:31], -1, 0
	s_lshl_b64 s[34:35], s[28:29], 1
	v_and_b32_e32 v8, 0x3ff, v0
	s_add_u32 s1, s36, s34
	v_mbcnt_hi_u32_b32 v1, -1, v1
	s_addc_u32 s3, s37, s35
	v_lshlrev_b32_e32 v6, 2, v8
	v_lshlrev_b32_e32 v2, 1, v1
	v_and_b32_e32 v7, 0x300, v6
	v_mov_b32_e32 v3, s3
	v_add_co_u32_e32 v2, vcc, s1, v2
	v_addc_co_u32_e32 v3, vcc, 0, v3, vcc
	v_lshlrev_b32_e32 v4, 1, v7
	v_add_co_u32_e32 v4, vcc, v2, v4
	s_cmp_eq_u32 s6, s0
	v_addc_co_u32_e32 v5, vcc, 0, v3, vcc
	v_lshlrev_b32_e32 v17, 3, v1
	v_lshlrev_b32_e32 v16, 3, v7
	v_add_u32_e32 v9, v1, v7
	s_cbranch_scc1 .LBB0_2
; %bb.1:
	s_lshl_b64 s[0:1], s[28:29], 3
	s_add_u32 s0, s40, s0
	s_addc_u32 s1, s41, s1
	v_mov_b32_e32 v2, s1
	v_add_co_u32_e32 v3, vcc, s0, v17
	v_addc_co_u32_e32 v2, vcc, 0, v2, vcc
	v_add_co_u32_e32 v12, vcc, v3, v16
	v_addc_co_u32_e32 v13, vcc, 0, v2, vcc
	global_load_ushort v11, v[4:5], off
	global_load_ushort v10, v[4:5], off offset:128
	global_load_ushort v15, v[4:5], off offset:256
	;; [unrolled: 1-line block ×3, first 2 shown]
	global_load_dwordx2 v[2:3], v[12:13], off
	global_load_dwordx2 v[20:21], v[12:13], off offset:512
	global_load_dwordx2 v[22:23], v[12:13], off offset:1024
	;; [unrolled: 1-line block ×3, first 2 shown]
	v_add_u32_e32 v18, v1, v7
	v_add_u32_e32 v7, 64, v18
	v_add_u32_e32 v12, 0x80, v18
	v_add_u32_e32 v13, 0xc0, v18
	s_sub_i32 s33, s2, s28
	s_cbranch_execz .LBB0_3
	s_branch .LBB0_17
.LBB0_2:
                                        ; implicit-def: $vgpr2_vgpr3
                                        ; implicit-def: $vgpr20_vgpr21
                                        ; implicit-def: $vgpr22_vgpr23
                                        ; implicit-def: $vgpr24_vgpr25
                                        ; implicit-def: $vgpr11
                                        ; implicit-def: $vgpr10
                                        ; implicit-def: $vgpr15
                                        ; implicit-def: $vgpr14
                                        ; implicit-def: $vgpr18
                                        ; implicit-def: $vgpr7
                                        ; implicit-def: $vgpr12
                                        ; implicit-def: $vgpr13
	s_sub_i32 s33, s2, s28
.LBB0_3:
	v_cmp_gt_u32_e32 vcc, s33, v9
	s_waitcnt vmcnt(6)
	v_mov_b32_e32 v10, -1
	v_mov_b32_e32 v11, -1
	s_and_saveexec_b64 s[0:1], vcc
	s_cbranch_execz .LBB0_5
; %bb.4:
	global_load_ushort v11, v[4:5], off
.LBB0_5:
	s_or_b64 exec, exec, s[0:1]
	v_add_u32_e32 v7, 64, v9
	v_cmp_gt_u32_e64 s[0:1], s33, v7
	s_and_saveexec_b64 s[2:3], s[0:1]
	s_cbranch_execz .LBB0_7
; %bb.6:
	global_load_ushort v10, v[4:5], off offset:128
.LBB0_7:
	s_or_b64 exec, exec, s[2:3]
	v_add_u32_e32 v12, 0x80, v9
	v_cmp_gt_u32_e64 s[2:3], s33, v12
	s_waitcnt vmcnt(4)
	v_mov_b32_e32 v14, -1
	v_mov_b32_e32 v15, -1
	s_and_saveexec_b64 s[6:7], s[2:3]
	s_cbranch_execz .LBB0_9
; %bb.8:
	global_load_ushort v15, v[4:5], off offset:256
.LBB0_9:
	s_or_b64 exec, exec, s[6:7]
	v_add_u32_e32 v13, 0xc0, v9
	v_cmp_gt_u32_e64 s[6:7], s33, v13
	s_and_saveexec_b64 s[8:9], s[6:7]
	s_cbranch_execz .LBB0_11
; %bb.10:
	global_load_ushort v14, v[4:5], off offset:384
.LBB0_11:
	s_or_b64 exec, exec, s[8:9]
	s_lshl_b64 s[8:9], s[28:29], 3
	s_add_u32 s8, s40, s8
	s_addc_u32 s9, s41, s9
	s_waitcnt vmcnt(3)
	v_mov_b32_e32 v2, s9
	v_add_co_u32_e64 v3, s[8:9], s8, v17
	v_addc_co_u32_e64 v2, s[8:9], 0, v2, s[8:9]
	v_add_co_u32_e64 v4, s[8:9], v3, v16
	v_addc_co_u32_e64 v5, s[8:9], 0, v2, s[8:9]
                                        ; implicit-def: $vgpr2_vgpr3
	s_and_saveexec_b64 s[8:9], vcc
	s_cbranch_execnz .LBB0_54
; %bb.12:
	s_or_b64 exec, exec, s[8:9]
                                        ; implicit-def: $vgpr20_vgpr21
	s_and_saveexec_b64 s[8:9], s[0:1]
	s_cbranch_execnz .LBB0_55
.LBB0_13:
	s_or_b64 exec, exec, s[8:9]
                                        ; implicit-def: $vgpr22_vgpr23
	s_and_saveexec_b64 s[0:1], s[2:3]
	s_cbranch_execnz .LBB0_56
.LBB0_14:
	s_or_b64 exec, exec, s[0:1]
                                        ; implicit-def: $vgpr24_vgpr25
	s_and_saveexec_b64 s[0:1], s[6:7]
	s_cbranch_execz .LBB0_16
.LBB0_15:
	global_load_dwordx2 v[24:25], v[4:5], off offset:1536
.LBB0_16:
	s_or_b64 exec, exec, s[0:1]
	v_mov_b32_e32 v18, v9
.LBB0_17:
	s_load_dwordx2 s[36:37], s[4:5], 0x28
	s_load_dword s0, s[4:5], 0x3c
	v_mov_b32_e32 v9, 0x7fff
	s_waitcnt vmcnt(0)
	v_cmp_gt_i16_e32 vcc, 0, v11
	v_cndmask_b32_e64 v4, v9, 0, vcc
	v_cmp_gt_i16_e32 vcc, 0, v10
	v_xor_b32_e32 v19, v4, v11
	v_cndmask_b32_e64 v4, v9, 0, vcc
	v_cmp_gt_i16_e32 vcc, 0, v15
	v_xor_b32_e32 v47, v4, v10
	;; [unrolled: 3-line block ×3, first 2 shown]
	v_cndmask_b32_e64 v4, v9, 0, vcc
	v_xor_b32_e32 v49, v4, v14
	s_waitcnt lgkmcnt(0)
	s_lshr_b32 s1, s0, 16
	v_bfe_u32 v4, v0, 10, 10
	v_bfe_u32 v0, v0, 20, 10
	s_and_b32 s0, s0, 0xffff
	v_mad_u32_u24 v0, v0, s1, v4
	v_mad_u64_u32 v[4:5], s[0:1], v0, s0, v[8:9]
	v_and_b32_e32 v0, 15, v1
	v_cmp_eq_u32_e64 s[0:1], 0, v0
	v_cmp_lt_u32_e64 s[2:3], 1, v0
	v_cmp_lt_u32_e64 s[4:5], 3, v0
	;; [unrolled: 1-line block ×3, first 2 shown]
	v_and_b32_e32 v0, 16, v1
	v_cmp_eq_u32_e64 s[8:9], 0, v0
	v_and_b32_e32 v0, 0x3c0, v8
	v_min_u32_e32 v0, 0xc0, v0
	v_or_b32_e32 v0, 63, v0
	v_lshrrev_b32_e32 v29, 6, v4
	v_cmp_eq_u32_e64 s[12:13], v0, v8
	v_add_u32_e32 v0, -1, v1
	v_and_b32_e32 v4, 64, v1
	v_cmp_lt_i32_e32 vcc, v0, v4
	v_cndmask_b32_e32 v0, v0, v1, vcc
	s_mov_b32 s26, 0
	v_cmp_lt_u32_e64 s[10:11], 31, v1
	v_lshlrev_b32_e32 v31, 2, v0
	v_cmp_eq_u32_e64 s[18:19], 0, v1
	v_lshrrev_b32_e32 v0, 4, v8
	v_and_b32_e32 v1, 3, v1
	v_lshlrev_b32_e32 v27, 2, v6
	v_and_b32_e32 v32, 60, v0
	v_mul_i32_i24_e32 v0, -12, v8
	v_cmp_eq_u32_e64 s[22:23], 0, v1
	v_cmp_lt_u32_e64 s[24:25], 1, v1
	v_lshlrev_b32_e32 v34, 1, v18
	v_lshlrev_b32_e32 v35, 1, v7
	;; [unrolled: 1-line block ×4, first 2 shown]
	v_mul_lo_u32 v1, v18, 6
	v_mul_lo_u32 v4, v7, 6
	v_mul_lo_u32 v5, v12, 6
	v_mul_lo_u32 v6, v13, 6
	s_mov_b32 s27, s26
	s_mov_b32 s44, s26
	;; [unrolled: 1-line block ×3, first 2 shown]
	s_add_i32 s40, s37, s36
	v_cmp_gt_u32_e64 s[14:15], 4, v8
	v_cmp_lt_u32_e64 s[16:17], 63, v8
	v_cmp_eq_u32_e64 s[20:21], 0, v8
	v_add_u32_e32 v33, -4, v32
	v_pk_mov_b32 v[14:15], s[26:27], s[26:27] op_sel:[0,1]
	v_pk_mov_b32 v[16:17], s[44:45], s[44:45] op_sel:[0,1]
	s_movk_i32 s41, 0x8000
	v_add_u32_e32 v38, v27, v0
	v_add_u32_e32 v39, v34, v1
	;; [unrolled: 1-line block ×5, first 2 shown]
	v_mov_b32_e32 v18, 0
	s_branch .LBB0_19
.LBB0_18:                               ;   in Loop: Header=BB0_19 Depth=1
	v_mad_u64_u32 v[2:3], s[26:27], v52, 6, v[30:31]
	s_barrier
	ds_write_b16 v30, v46
	ds_write_b16 v28, v45
	;; [unrolled: 1-line block ×4, first 2 shown]
	s_waitcnt lgkmcnt(0)
	s_barrier
	ds_read_u16 v19, v34
	ds_read_u16 v47, v35
	;; [unrolled: 1-line block ×4, first 2 shown]
	s_waitcnt lgkmcnt(0)
	s_barrier
	ds_write_b64 v2, v[12:13]
	v_mad_u64_u32 v[2:3], s[26:27], v51, 6, v[28:29]
	ds_write_b64 v2, v[10:11]
	v_mad_u64_u32 v[2:3], s[26:27], v50, 6, v[26:27]
	;; [unrolled: 2-line block ×3, first 2 shown]
	ds_write_b64 v2, v[4:5]
	s_waitcnt lgkmcnt(0)
	s_barrier
	ds_read_b64 v[2:3], v39
	ds_read_b64 v[20:21], v40
	;; [unrolled: 1-line block ×4, first 2 shown]
	s_add_i32 s37, s37, -8
	s_waitcnt lgkmcnt(0)
	s_barrier
	s_cbranch_execz .LBB0_35
.LBB0_19:                               ; =>This Inner Loop Header: Depth=1
	v_mov_b32_e32 v46, v19
	s_min_u32 s26, s37, 8
	v_cmp_ne_u16_e32 vcc, s41, v46
	s_lshl_b32 s26, -1, s26
	v_cndmask_b32_e32 v0, v9, v46, vcc
	s_not_b32 s44, s26
	v_lshrrev_b32_sdwa v0, s36, v0 dst_sel:DWORD dst_unused:UNUSED_PAD src0_sel:DWORD src1_sel:WORD_0
	v_and_b32_e32 v0, s44, v0
	v_lshl_add_u32 v1, v0, 2, v29
	v_pk_mov_b32 v[10:11], v[20:21], v[20:21] op_sel:[0,1]
	v_lshl_add_u32 v20, v1, 2, 16
	v_and_b32_e32 v1, 1, v0
	v_pk_mov_b32 v[12:13], v[2:3], v[2:3] op_sel:[0,1]
	v_add_co_u32_e32 v2, vcc, -1, v1
	v_addc_co_u32_e64 v3, s[26:27], 0, -1, vcc
	v_cmp_ne_u32_e32 vcc, 0, v1
	v_lshlrev_b32_e32 v19, 30, v0
	v_xor_b32_e32 v1, vcc_hi, v3
	v_not_b32_e32 v3, v19
	v_xor_b32_e32 v2, vcc_lo, v2
	v_cmp_gt_i64_e32 vcc, 0, v[18:19]
	v_ashrrev_i32_e32 v3, 31, v3
	v_and_b32_e32 v1, exec_hi, v1
	v_xor_b32_e32 v19, vcc_hi, v3
	v_and_b32_e32 v2, exec_lo, v2
	v_xor_b32_e32 v3, vcc_lo, v3
	v_and_b32_e32 v1, v1, v19
	v_lshlrev_b32_e32 v19, 29, v0
	v_and_b32_e32 v2, v2, v3
	v_not_b32_e32 v3, v19
	v_cmp_gt_i64_e32 vcc, 0, v[18:19]
	v_ashrrev_i32_e32 v3, 31, v3
	v_xor_b32_e32 v19, vcc_hi, v3
	v_xor_b32_e32 v3, vcc_lo, v3
	v_and_b32_e32 v1, v1, v19
	v_lshlrev_b32_e32 v19, 28, v0
	v_and_b32_e32 v2, v2, v3
	v_not_b32_e32 v3, v19
	v_cmp_gt_i64_e32 vcc, 0, v[18:19]
	v_ashrrev_i32_e32 v3, 31, v3
	v_xor_b32_e32 v19, vcc_hi, v3
	;; [unrolled: 8-line block ×5, first 2 shown]
	v_and_b32_e32 v1, v1, v19
	v_lshlrev_b32_e32 v19, 24, v0
	v_not_b32_e32 v0, v19
	v_xor_b32_e32 v3, vcc_lo, v3
	v_cmp_gt_i64_e32 vcc, 0, v[18:19]
	v_ashrrev_i32_e32 v0, 31, v0
	v_and_b32_e32 v2, v2, v3
	v_xor_b32_e32 v3, vcc_hi, v0
	v_xor_b32_e32 v0, vcc_lo, v0
	v_and_b32_e32 v0, v2, v0
	v_and_b32_e32 v1, v1, v3
	v_mbcnt_lo_u32_b32 v2, v0, 0
	v_mbcnt_hi_u32_b32 v21, v1, v2
	v_cmp_eq_u32_e32 vcc, 0, v21
	v_cmp_ne_u64_e64 s[26:27], 0, v[0:1]
	v_pk_mov_b32 v[6:7], v[22:23], v[22:23] op_sel:[0,1]
	v_pk_mov_b32 v[4:5], v[24:25], v[24:25] op_sel:[0,1]
	v_mov_b32_e32 v45, v47
	v_mov_b32_e32 v44, v48
	;; [unrolled: 1-line block ×3, first 2 shown]
	s_and_b64 s[46:47], s[26:27], vcc
	ds_write2_b64 v27, v[14:15], v[16:17] offset0:2 offset1:3
	s_waitcnt lgkmcnt(0)
	s_barrier
	s_waitcnt lgkmcnt(0)
	; wave barrier
	s_and_saveexec_b64 s[26:27], s[46:47]
	s_cbranch_execz .LBB0_21
; %bb.20:                               ;   in Loop: Header=BB0_19 Depth=1
	v_bcnt_u32_b32 v0, v0, 0
	v_bcnt_u32_b32 v0, v1, v0
	ds_write_b32 v20, v0
.LBB0_21:                               ;   in Loop: Header=BB0_19 Depth=1
	s_or_b64 exec, exec, s[26:27]
	v_cmp_ne_u16_e32 vcc, s41, v45
	v_cndmask_b32_e32 v0, v9, v45, vcc
	v_lshrrev_b32_sdwa v0, s36, v0 dst_sel:DWORD dst_unused:UNUSED_PAD src0_sel:DWORD src1_sel:WORD_0
	v_and_b32_e32 v0, s44, v0
	v_lshlrev_b32_e32 v1, 2, v0
	v_add_lshl_u32 v1, v1, v29, 2
	; wave barrier
	v_add_u32_e32 v23, 16, v1
	ds_read_b32 v22, v1 offset:16
	v_and_b32_e32 v1, 1, v0
	v_add_co_u32_e32 v2, vcc, -1, v1
	v_addc_co_u32_e64 v3, s[26:27], 0, -1, vcc
	v_cmp_ne_u32_e32 vcc, 0, v1
	v_lshlrev_b32_e32 v19, 30, v0
	v_xor_b32_e32 v1, vcc_hi, v3
	v_not_b32_e32 v3, v19
	v_xor_b32_e32 v2, vcc_lo, v2
	v_cmp_gt_i64_e32 vcc, 0, v[18:19]
	v_ashrrev_i32_e32 v3, 31, v3
	v_and_b32_e32 v1, exec_hi, v1
	v_xor_b32_e32 v19, vcc_hi, v3
	v_and_b32_e32 v2, exec_lo, v2
	v_xor_b32_e32 v3, vcc_lo, v3
	v_and_b32_e32 v1, v1, v19
	v_lshlrev_b32_e32 v19, 29, v0
	v_and_b32_e32 v2, v2, v3
	v_not_b32_e32 v3, v19
	v_cmp_gt_i64_e32 vcc, 0, v[18:19]
	v_ashrrev_i32_e32 v3, 31, v3
	v_xor_b32_e32 v19, vcc_hi, v3
	v_xor_b32_e32 v3, vcc_lo, v3
	v_and_b32_e32 v1, v1, v19
	v_lshlrev_b32_e32 v19, 28, v0
	v_and_b32_e32 v2, v2, v3
	v_not_b32_e32 v3, v19
	v_cmp_gt_i64_e32 vcc, 0, v[18:19]
	v_ashrrev_i32_e32 v3, 31, v3
	v_xor_b32_e32 v19, vcc_hi, v3
	v_xor_b32_e32 v3, vcc_lo, v3
	v_and_b32_e32 v1, v1, v19
	v_lshlrev_b32_e32 v19, 27, v0
	v_and_b32_e32 v2, v2, v3
	v_not_b32_e32 v3, v19
	v_cmp_gt_i64_e32 vcc, 0, v[18:19]
	v_ashrrev_i32_e32 v3, 31, v3
	v_xor_b32_e32 v19, vcc_hi, v3
	v_xor_b32_e32 v3, vcc_lo, v3
	v_and_b32_e32 v1, v1, v19
	v_lshlrev_b32_e32 v19, 26, v0
	v_and_b32_e32 v2, v2, v3
	v_not_b32_e32 v3, v19
	v_cmp_gt_i64_e32 vcc, 0, v[18:19]
	v_ashrrev_i32_e32 v3, 31, v3
	v_xor_b32_e32 v19, vcc_hi, v3
	v_xor_b32_e32 v3, vcc_lo, v3
	v_and_b32_e32 v1, v1, v19
	v_lshlrev_b32_e32 v19, 25, v0
	v_and_b32_e32 v2, v2, v3
	v_not_b32_e32 v3, v19
	v_cmp_gt_i64_e32 vcc, 0, v[18:19]
	v_ashrrev_i32_e32 v3, 31, v3
	v_xor_b32_e32 v19, vcc_hi, v3
	v_and_b32_e32 v1, v1, v19
	v_lshlrev_b32_e32 v19, 24, v0
	v_not_b32_e32 v0, v19
	v_xor_b32_e32 v3, vcc_lo, v3
	v_cmp_gt_i64_e32 vcc, 0, v[18:19]
	v_ashrrev_i32_e32 v0, 31, v0
	v_and_b32_e32 v2, v2, v3
	v_xor_b32_e32 v3, vcc_hi, v0
	v_xor_b32_e32 v0, vcc_lo, v0
	v_and_b32_e32 v0, v2, v0
	v_and_b32_e32 v1, v1, v3
	v_mbcnt_lo_u32_b32 v2, v0, 0
	v_mbcnt_hi_u32_b32 v24, v1, v2
	v_cmp_eq_u32_e32 vcc, 0, v24
	v_cmp_ne_u64_e64 s[26:27], 0, v[0:1]
	s_and_b64 s[46:47], s[26:27], vcc
	; wave barrier
	s_and_saveexec_b64 s[26:27], s[46:47]
	s_cbranch_execz .LBB0_23
; %bb.22:                               ;   in Loop: Header=BB0_19 Depth=1
	v_bcnt_u32_b32 v0, v0, 0
	v_bcnt_u32_b32 v0, v1, v0
	s_waitcnt lgkmcnt(0)
	v_add_u32_e32 v0, v22, v0
	ds_write_b32 v23, v0
.LBB0_23:                               ;   in Loop: Header=BB0_19 Depth=1
	s_or_b64 exec, exec, s[26:27]
	v_cmp_ne_u16_e32 vcc, s41, v44
	v_cndmask_b32_e32 v0, v9, v44, vcc
	v_lshrrev_b32_sdwa v0, s36, v0 dst_sel:DWORD dst_unused:UNUSED_PAD src0_sel:DWORD src1_sel:WORD_0
	v_and_b32_e32 v0, s44, v0
	v_lshlrev_b32_e32 v1, 2, v0
	v_add_lshl_u32 v1, v1, v29, 2
	; wave barrier
	v_add_u32_e32 v26, 16, v1
	ds_read_b32 v25, v1 offset:16
	v_and_b32_e32 v1, 1, v0
	v_add_co_u32_e32 v2, vcc, -1, v1
	v_addc_co_u32_e64 v3, s[26:27], 0, -1, vcc
	v_cmp_ne_u32_e32 vcc, 0, v1
	v_lshlrev_b32_e32 v19, 30, v0
	v_xor_b32_e32 v1, vcc_hi, v3
	v_not_b32_e32 v3, v19
	v_xor_b32_e32 v2, vcc_lo, v2
	v_cmp_gt_i64_e32 vcc, 0, v[18:19]
	v_ashrrev_i32_e32 v3, 31, v3
	v_and_b32_e32 v1, exec_hi, v1
	v_xor_b32_e32 v19, vcc_hi, v3
	v_and_b32_e32 v2, exec_lo, v2
	v_xor_b32_e32 v3, vcc_lo, v3
	v_and_b32_e32 v1, v1, v19
	v_lshlrev_b32_e32 v19, 29, v0
	v_and_b32_e32 v2, v2, v3
	v_not_b32_e32 v3, v19
	v_cmp_gt_i64_e32 vcc, 0, v[18:19]
	v_ashrrev_i32_e32 v3, 31, v3
	v_xor_b32_e32 v19, vcc_hi, v3
	v_xor_b32_e32 v3, vcc_lo, v3
	v_and_b32_e32 v1, v1, v19
	v_lshlrev_b32_e32 v19, 28, v0
	v_and_b32_e32 v2, v2, v3
	v_not_b32_e32 v3, v19
	v_cmp_gt_i64_e32 vcc, 0, v[18:19]
	v_ashrrev_i32_e32 v3, 31, v3
	v_xor_b32_e32 v19, vcc_hi, v3
	;; [unrolled: 8-line block ×5, first 2 shown]
	v_and_b32_e32 v1, v1, v19
	v_lshlrev_b32_e32 v19, 24, v0
	v_not_b32_e32 v0, v19
	v_xor_b32_e32 v3, vcc_lo, v3
	v_cmp_gt_i64_e32 vcc, 0, v[18:19]
	v_ashrrev_i32_e32 v0, 31, v0
	v_and_b32_e32 v2, v2, v3
	v_xor_b32_e32 v3, vcc_hi, v0
	v_xor_b32_e32 v0, vcc_lo, v0
	v_and_b32_e32 v0, v2, v0
	v_and_b32_e32 v1, v1, v3
	v_mbcnt_lo_u32_b32 v2, v0, 0
	v_mbcnt_hi_u32_b32 v28, v1, v2
	v_cmp_eq_u32_e32 vcc, 0, v28
	v_cmp_ne_u64_e64 s[26:27], 0, v[0:1]
	s_and_b64 s[46:47], s[26:27], vcc
	; wave barrier
	s_and_saveexec_b64 s[26:27], s[46:47]
	s_cbranch_execz .LBB0_25
; %bb.24:                               ;   in Loop: Header=BB0_19 Depth=1
	v_bcnt_u32_b32 v0, v0, 0
	v_bcnt_u32_b32 v0, v1, v0
	s_waitcnt lgkmcnt(0)
	v_add_u32_e32 v0, v25, v0
	ds_write_b32 v26, v0
.LBB0_25:                               ;   in Loop: Header=BB0_19 Depth=1
	s_or_b64 exec, exec, s[26:27]
	v_cmp_ne_u16_e32 vcc, s41, v43
	v_cndmask_b32_e32 v0, v9, v43, vcc
	v_lshrrev_b32_sdwa v0, s36, v0 dst_sel:DWORD dst_unused:UNUSED_PAD src0_sel:DWORD src1_sel:WORD_0
	v_and_b32_e32 v0, s44, v0
	v_lshlrev_b32_e32 v1, 2, v0
	v_add_lshl_u32 v1, v1, v29, 2
	; wave barrier
	v_add_u32_e32 v47, 16, v1
	ds_read_b32 v30, v1 offset:16
	v_and_b32_e32 v1, 1, v0
	v_add_co_u32_e32 v2, vcc, -1, v1
	v_addc_co_u32_e64 v3, s[26:27], 0, -1, vcc
	v_cmp_ne_u32_e32 vcc, 0, v1
	v_lshlrev_b32_e32 v19, 30, v0
	v_xor_b32_e32 v1, vcc_hi, v3
	v_not_b32_e32 v3, v19
	v_xor_b32_e32 v2, vcc_lo, v2
	v_cmp_gt_i64_e32 vcc, 0, v[18:19]
	v_ashrrev_i32_e32 v3, 31, v3
	v_and_b32_e32 v1, exec_hi, v1
	v_xor_b32_e32 v19, vcc_hi, v3
	v_and_b32_e32 v2, exec_lo, v2
	v_xor_b32_e32 v3, vcc_lo, v3
	v_and_b32_e32 v1, v1, v19
	v_lshlrev_b32_e32 v19, 29, v0
	v_and_b32_e32 v2, v2, v3
	v_not_b32_e32 v3, v19
	v_cmp_gt_i64_e32 vcc, 0, v[18:19]
	v_ashrrev_i32_e32 v3, 31, v3
	v_xor_b32_e32 v19, vcc_hi, v3
	v_xor_b32_e32 v3, vcc_lo, v3
	v_and_b32_e32 v1, v1, v19
	v_lshlrev_b32_e32 v19, 28, v0
	v_and_b32_e32 v2, v2, v3
	v_not_b32_e32 v3, v19
	v_cmp_gt_i64_e32 vcc, 0, v[18:19]
	v_ashrrev_i32_e32 v3, 31, v3
	v_xor_b32_e32 v19, vcc_hi, v3
	;; [unrolled: 8-line block ×5, first 2 shown]
	v_and_b32_e32 v1, v1, v19
	v_lshlrev_b32_e32 v19, 24, v0
	v_not_b32_e32 v0, v19
	v_xor_b32_e32 v3, vcc_lo, v3
	v_cmp_gt_i64_e32 vcc, 0, v[18:19]
	v_ashrrev_i32_e32 v0, 31, v0
	v_and_b32_e32 v2, v2, v3
	v_xor_b32_e32 v3, vcc_hi, v0
	v_xor_b32_e32 v0, vcc_lo, v0
	v_and_b32_e32 v0, v2, v0
	v_and_b32_e32 v1, v1, v3
	v_mbcnt_lo_u32_b32 v2, v0, 0
	v_mbcnt_hi_u32_b32 v19, v1, v2
	v_cmp_eq_u32_e32 vcc, 0, v19
	v_cmp_ne_u64_e64 s[26:27], 0, v[0:1]
	s_and_b64 s[44:45], s[26:27], vcc
	; wave barrier
	s_and_saveexec_b64 s[26:27], s[44:45]
	s_cbranch_execz .LBB0_27
; %bb.26:                               ;   in Loop: Header=BB0_19 Depth=1
	v_bcnt_u32_b32 v0, v0, 0
	v_bcnt_u32_b32 v0, v1, v0
	s_waitcnt lgkmcnt(0)
	v_add_u32_e32 v0, v30, v0
	ds_write_b32 v47, v0
.LBB0_27:                               ;   in Loop: Header=BB0_19 Depth=1
	s_or_b64 exec, exec, s[26:27]
	; wave barrier
	s_waitcnt lgkmcnt(0)
	s_barrier
	ds_read2_b64 v[0:3], v27 offset0:2 offset1:3
	s_waitcnt lgkmcnt(0)
	v_add_u32_e32 v48, v1, v0
	v_add3_u32 v3, v48, v2, v3
	s_nop 1
	v_mov_b32_dpp v48, v3 row_shr:1 row_mask:0xf bank_mask:0xf
	v_cndmask_b32_e64 v48, v48, 0, s[0:1]
	v_add_u32_e32 v3, v48, v3
	s_nop 1
	v_mov_b32_dpp v48, v3 row_shr:2 row_mask:0xf bank_mask:0xf
	v_cndmask_b32_e64 v48, 0, v48, s[2:3]
	v_add_u32_e32 v3, v3, v48
	;; [unrolled: 4-line block ×4, first 2 shown]
	s_nop 1
	v_mov_b32_dpp v48, v3 row_bcast:15 row_mask:0xf bank_mask:0xf
	v_cndmask_b32_e64 v48, v48, 0, s[8:9]
	v_add_u32_e32 v3, v3, v48
	s_nop 1
	v_mov_b32_dpp v48, v3 row_bcast:31 row_mask:0xf bank_mask:0xf
	v_cndmask_b32_e64 v48, 0, v48, s[10:11]
	v_add_u32_e32 v3, v3, v48
	s_and_saveexec_b64 s[26:27], s[12:13]
	s_cbranch_execz .LBB0_29
; %bb.28:                               ;   in Loop: Header=BB0_19 Depth=1
	ds_write_b32 v32, v3
.LBB0_29:                               ;   in Loop: Header=BB0_19 Depth=1
	s_or_b64 exec, exec, s[26:27]
	s_waitcnt lgkmcnt(0)
	s_barrier
	s_and_saveexec_b64 s[26:27], s[14:15]
	s_cbranch_execz .LBB0_31
; %bb.30:                               ;   in Loop: Header=BB0_19 Depth=1
	ds_read_b32 v48, v38
	s_waitcnt lgkmcnt(0)
	s_nop 0
	v_mov_b32_dpp v49, v48 row_shr:1 row_mask:0xf bank_mask:0xf
	v_cndmask_b32_e64 v49, v49, 0, s[22:23]
	v_add_u32_e32 v48, v49, v48
	s_nop 1
	v_mov_b32_dpp v49, v48 row_shr:2 row_mask:0xf bank_mask:0xf
	v_cndmask_b32_e64 v49, 0, v49, s[24:25]
	v_add_u32_e32 v48, v48, v49
	ds_write_b32 v38, v48
.LBB0_31:                               ;   in Loop: Header=BB0_19 Depth=1
	s_or_b64 exec, exec, s[26:27]
	v_mov_b32_e32 v48, 0
	s_waitcnt lgkmcnt(0)
	s_barrier
	s_and_saveexec_b64 s[26:27], s[16:17]
	s_cbranch_execz .LBB0_33
; %bb.32:                               ;   in Loop: Header=BB0_19 Depth=1
	ds_read_b32 v48, v33
.LBB0_33:                               ;   in Loop: Header=BB0_19 Depth=1
	s_or_b64 exec, exec, s[26:27]
	s_waitcnt lgkmcnt(0)
	v_add_u32_e32 v3, v48, v3
	ds_bpermute_b32 v3, v31, v3
	s_add_i32 s36, s36, 8
	s_cmp_ge_u32 s36, s40
	s_waitcnt lgkmcnt(0)
	v_cndmask_b32_e64 v3, v3, v48, s[18:19]
	v_cndmask_b32_e64 v48, v3, 0, s[20:21]
	v_add_u32_e32 v49, v48, v0
	v_add_u32_e32 v0, v49, v1
	;; [unrolled: 1-line block ×3, first 2 shown]
	ds_write2_b64 v27, v[48:49], v[0:1] offset0:2 offset1:3
	s_waitcnt lgkmcnt(0)
	s_barrier
	ds_read_b32 v0, v20
	ds_read_b32 v1, v23
	;; [unrolled: 1-line block ×4, first 2 shown]
	s_waitcnt lgkmcnt(0)
	v_add_u32_e32 v52, v0, v21
	v_add3_u32 v51, v24, v22, v1
	v_add3_u32 v50, v28, v25, v2
	;; [unrolled: 1-line block ×3, first 2 shown]
	v_lshlrev_b32_e32 v30, 1, v52
	v_lshlrev_b32_e32 v28, 1, v51
	;; [unrolled: 1-line block ×4, first 2 shown]
	s_cbranch_scc0 .LBB0_18
; %bb.34:
                                        ; implicit-def: $sgpr36
                                        ; implicit-def: $vgpr2_vgpr3
                                        ; implicit-def: $vgpr20_vgpr21
                                        ; implicit-def: $vgpr22_vgpr23
                                        ; implicit-def: $vgpr24_vgpr25
                                        ; implicit-def: $vgpr19
                                        ; implicit-def: $vgpr47
                                        ; implicit-def: $vgpr48
                                        ; implicit-def: $vgpr49
.LBB0_35:
	v_lshlrev_b32_e32 v16, 1, v8
	s_barrier
	ds_write_b16 v30, v46
	ds_write_b16 v28, v45
	;; [unrolled: 1-line block ×4, first 2 shown]
	s_waitcnt lgkmcnt(0)
	s_barrier
	ds_read_u16 v9, v16
	ds_read_u16 v14, v16 offset:512
	ds_read_u16 v17, v16 offset:1024
	;; [unrolled: 1-line block ×3, first 2 shown]
	v_mad_u64_u32 v[2:3], s[0:1], v52, 6, v[30:31]
	s_waitcnt lgkmcnt(0)
	s_barrier
	ds_write_b64 v2, v[12:13]
	v_mad_u64_u32 v[2:3], s[0:1], v51, 6, v[28:29]
	ds_write_b64 v2, v[10:11]
	v_mad_u64_u32 v[2:3], s[0:1], v50, 6, v[26:27]
	v_mad_u64_u32 v[0:1], s[0:1], v1, 6, v[0:1]
	v_mov_b32_e32 v10, 0x7fff
	v_cmp_gt_i16_e32 vcc, 0, v9
	ds_write_b64 v2, v[6:7]
	ds_write_b64 v0, v[4:5]
	v_mad_u32_u24 v0, v8, 6, v16
	v_cndmask_b32_e64 v11, v10, 0, vcc
	v_cmp_gt_i16_e32 vcc, 0, v14
	s_waitcnt lgkmcnt(0)
	s_barrier
	ds_read2st64_b64 v[4:7], v0 offset1:4
	ds_read2st64_b64 v[0:3], v0 offset0:8 offset1:12
	v_xor_b32_e32 v15, v11, v9
	v_cndmask_b32_e64 v9, v10, 0, vcc
	v_cmp_gt_i16_e32 vcc, 0, v17
	s_add_u32 s0, s38, s34
	v_xor_b32_e32 v14, v9, v14
	v_cndmask_b32_e64 v9, v10, 0, vcc
	v_cmp_gt_i16_e32 vcc, 0, v18
	s_addc_u32 s1, s39, s35
	v_xor_b32_e32 v13, v9, v17
	v_cndmask_b32_e64 v9, v10, 0, vcc
	v_mov_b32_e32 v11, s1
	v_add_co_u32_e32 v10, vcc, s0, v16
	v_addc_co_u32_e32 v11, vcc, 0, v11, vcc
	v_xor_b32_e32 v9, v9, v18
	s_andn2_b64 vcc, exec, s[30:31]
	v_lshlrev_b32_e32 v12, 3, v8
	s_cbranch_vccnz .LBB0_37
; %bb.36:
	s_lshl_b64 s[0:1], s[28:29], 3
	s_add_u32 s0, s42, s0
	s_addc_u32 s1, s43, s1
	v_mov_b32_e32 v16, s1
	v_add_co_u32_e32 v17, vcc, s0, v12
	v_addc_co_u32_e32 v18, vcc, 0, v16, vcc
	v_add_co_u32_e32 v16, vcc, 0x1000, v17
	global_store_short v[10:11], v15, off
	global_store_short v[10:11], v14, off offset:512
	global_store_short v[10:11], v13, off offset:1024
	;; [unrolled: 1-line block ×3, first 2 shown]
	s_waitcnt lgkmcnt(1)
	global_store_dwordx2 v12, v[4:5], s[0:1]
	global_store_dwordx2 v12, v[6:7], s[0:1] offset:2048
	v_addc_co_u32_e32 v17, vcc, 0, v18, vcc
	s_mov_b64 s[6:7], -1
	s_waitcnt lgkmcnt(0)
	global_store_dwordx2 v[16:17], v[0:1], off
	s_cbranch_execz .LBB0_38
	s_branch .LBB0_51
.LBB0_37:
	s_mov_b64 s[6:7], 0
.LBB0_38:
	v_cmp_gt_u32_e32 vcc, s33, v8
	s_and_saveexec_b64 s[0:1], vcc
	s_cbranch_execz .LBB0_40
; %bb.39:
	global_store_short v[10:11], v15, off
.LBB0_40:
	s_or_b64 exec, exec, s[0:1]
	v_add_u32_e32 v15, 0x100, v8
	v_cmp_gt_u32_e64 s[0:1], s33, v15
	s_and_saveexec_b64 s[2:3], s[0:1]
	s_cbranch_execz .LBB0_42
; %bb.41:
	global_store_short v[10:11], v14, off offset:512
.LBB0_42:
	s_or_b64 exec, exec, s[2:3]
	v_add_u32_e32 v14, 0x200, v8
	v_cmp_gt_u32_e64 s[2:3], s33, v14
	s_and_saveexec_b64 s[4:5], s[2:3]
	s_cbranch_execz .LBB0_44
; %bb.43:
	global_store_short v[10:11], v13, off offset:1024
.LBB0_44:
	;; [unrolled: 8-line block ×3, first 2 shown]
	s_or_b64 exec, exec, s[4:5]
	s_lshl_b64 s[4:5], s[28:29], 3
	s_add_u32 s4, s42, s4
	s_addc_u32 s5, s43, s5
	v_mov_b32_e32 v9, s5
	v_add_co_u32_e64 v8, s[4:5], s4, v12
	v_addc_co_u32_e64 v9, s[4:5], 0, v9, s[4:5]
	s_and_saveexec_b64 s[4:5], vcc
	s_cbranch_execnz .LBB0_57
; %bb.47:
	s_or_b64 exec, exec, s[4:5]
	s_and_saveexec_b64 s[4:5], s[0:1]
	s_cbranch_execnz .LBB0_58
.LBB0_48:
	s_or_b64 exec, exec, s[4:5]
	s_and_saveexec_b64 s[0:1], s[2:3]
	s_cbranch_execz .LBB0_50
.LBB0_49:
	s_waitcnt lgkmcnt(1)
	v_add_co_u32_e32 v4, vcc, 0x1000, v8
	v_addc_co_u32_e32 v5, vcc, 0, v9, vcc
	s_waitcnt lgkmcnt(0)
	global_store_dwordx2 v[4:5], v[0:1], off
.LBB0_50:
	s_or_b64 exec, exec, s[0:1]
.LBB0_51:
	s_and_saveexec_b64 s[0:1], s[6:7]
	s_cbranch_execnz .LBB0_53
; %bb.52:
	s_endpgm
.LBB0_53:
	s_lshl_b64 s[0:1], s[28:29], 3
	s_add_u32 s0, s42, s0
	s_addc_u32 s1, s43, s1
	s_waitcnt lgkmcnt(0)
	v_mov_b32_e32 v0, s1
	v_add_co_u32_e32 v1, vcc, s0, v12
	v_addc_co_u32_e32 v4, vcc, 0, v0, vcc
	v_add_co_u32_e32 v0, vcc, 0x1000, v1
	v_addc_co_u32_e32 v1, vcc, 0, v4, vcc
	global_store_dwordx2 v[0:1], v[2:3], off offset:2048
	s_endpgm
.LBB0_54:
	global_load_dwordx2 v[2:3], v[4:5], off
	s_or_b64 exec, exec, s[8:9]
                                        ; implicit-def: $vgpr20_vgpr21
	s_and_saveexec_b64 s[8:9], s[0:1]
	s_cbranch_execz .LBB0_13
.LBB0_55:
	global_load_dwordx2 v[20:21], v[4:5], off offset:512
	s_or_b64 exec, exec, s[8:9]
                                        ; implicit-def: $vgpr22_vgpr23
	s_and_saveexec_b64 s[0:1], s[2:3]
	s_cbranch_execz .LBB0_14
.LBB0_56:
	global_load_dwordx2 v[22:23], v[4:5], off offset:1024
	s_or_b64 exec, exec, s[0:1]
                                        ; implicit-def: $vgpr24_vgpr25
	s_and_saveexec_b64 s[0:1], s[6:7]
	s_cbranch_execnz .LBB0_15
	s_branch .LBB0_16
.LBB0_57:
	s_waitcnt lgkmcnt(1)
	global_store_dwordx2 v[8:9], v[4:5], off
	s_or_b64 exec, exec, s[4:5]
	s_and_saveexec_b64 s[4:5], s[0:1]
	s_cbranch_execz .LBB0_48
.LBB0_58:
	s_waitcnt lgkmcnt(1)
	global_store_dwordx2 v[8:9], v[6:7], off offset:2048
	s_or_b64 exec, exec, s[4:5]
	s_and_saveexec_b64 s[0:1], s[2:3]
	s_cbranch_execnz .LBB0_49
	s_branch .LBB0_50
	.section	.rodata,"a",@progbits
	.p2align	6, 0x0
	.amdhsa_kernel _ZN7rocprim17ROCPRIM_304000_NS6detail28radix_sort_block_sort_kernelINS1_36wrapped_radix_sort_block_sort_configINS0_13kernel_configILj256ELj4ELj4294967295EEE12hip_bfloat16N2at4cuda3cub6detail10OpaqueTypeILi8EEEEELb1EPKS6_PS6_PKSC_PSC_NS0_19identity_decomposerEEEvT1_T2_T3_T4_jT5_jj
		.amdhsa_group_segment_fixed_size 8192
		.amdhsa_private_segment_fixed_size 0
		.amdhsa_kernarg_size 304
		.amdhsa_user_sgpr_count 6
		.amdhsa_user_sgpr_private_segment_buffer 1
		.amdhsa_user_sgpr_dispatch_ptr 0
		.amdhsa_user_sgpr_queue_ptr 0
		.amdhsa_user_sgpr_kernarg_segment_ptr 1
		.amdhsa_user_sgpr_dispatch_id 0
		.amdhsa_user_sgpr_flat_scratch_init 0
		.amdhsa_user_sgpr_kernarg_preload_length 0
		.amdhsa_user_sgpr_kernarg_preload_offset 0
		.amdhsa_user_sgpr_private_segment_size 0
		.amdhsa_uses_dynamic_stack 0
		.amdhsa_system_sgpr_private_segment_wavefront_offset 0
		.amdhsa_system_sgpr_workgroup_id_x 1
		.amdhsa_system_sgpr_workgroup_id_y 0
		.amdhsa_system_sgpr_workgroup_id_z 0
		.amdhsa_system_sgpr_workgroup_info 0
		.amdhsa_system_vgpr_workitem_id 2
		.amdhsa_next_free_vgpr 53
		.amdhsa_next_free_sgpr 48
		.amdhsa_accum_offset 56
		.amdhsa_reserve_vcc 1
		.amdhsa_reserve_flat_scratch 0
		.amdhsa_float_round_mode_32 0
		.amdhsa_float_round_mode_16_64 0
		.amdhsa_float_denorm_mode_32 3
		.amdhsa_float_denorm_mode_16_64 3
		.amdhsa_dx10_clamp 1
		.amdhsa_ieee_mode 1
		.amdhsa_fp16_overflow 0
		.amdhsa_tg_split 0
		.amdhsa_exception_fp_ieee_invalid_op 0
		.amdhsa_exception_fp_denorm_src 0
		.amdhsa_exception_fp_ieee_div_zero 0
		.amdhsa_exception_fp_ieee_overflow 0
		.amdhsa_exception_fp_ieee_underflow 0
		.amdhsa_exception_fp_ieee_inexact 0
		.amdhsa_exception_int_div_zero 0
	.end_amdhsa_kernel
	.section	.text._ZN7rocprim17ROCPRIM_304000_NS6detail28radix_sort_block_sort_kernelINS1_36wrapped_radix_sort_block_sort_configINS0_13kernel_configILj256ELj4ELj4294967295EEE12hip_bfloat16N2at4cuda3cub6detail10OpaqueTypeILi8EEEEELb1EPKS6_PS6_PKSC_PSC_NS0_19identity_decomposerEEEvT1_T2_T3_T4_jT5_jj,"axG",@progbits,_ZN7rocprim17ROCPRIM_304000_NS6detail28radix_sort_block_sort_kernelINS1_36wrapped_radix_sort_block_sort_configINS0_13kernel_configILj256ELj4ELj4294967295EEE12hip_bfloat16N2at4cuda3cub6detail10OpaqueTypeILi8EEEEELb1EPKS6_PS6_PKSC_PSC_NS0_19identity_decomposerEEEvT1_T2_T3_T4_jT5_jj,comdat
.Lfunc_end0:
	.size	_ZN7rocprim17ROCPRIM_304000_NS6detail28radix_sort_block_sort_kernelINS1_36wrapped_radix_sort_block_sort_configINS0_13kernel_configILj256ELj4ELj4294967295EEE12hip_bfloat16N2at4cuda3cub6detail10OpaqueTypeILi8EEEEELb1EPKS6_PS6_PKSC_PSC_NS0_19identity_decomposerEEEvT1_T2_T3_T4_jT5_jj, .Lfunc_end0-_ZN7rocprim17ROCPRIM_304000_NS6detail28radix_sort_block_sort_kernelINS1_36wrapped_radix_sort_block_sort_configINS0_13kernel_configILj256ELj4ELj4294967295EEE12hip_bfloat16N2at4cuda3cub6detail10OpaqueTypeILi8EEEEELb1EPKS6_PS6_PKSC_PSC_NS0_19identity_decomposerEEEvT1_T2_T3_T4_jT5_jj
                                        ; -- End function
	.section	.AMDGPU.csdata,"",@progbits
; Kernel info:
; codeLenInByte = 4044
; NumSgprs: 52
; NumVgprs: 53
; NumAgprs: 0
; TotalNumVgprs: 53
; ScratchSize: 0
; MemoryBound: 0
; FloatMode: 240
; IeeeMode: 1
; LDSByteSize: 8192 bytes/workgroup (compile time only)
; SGPRBlocks: 6
; VGPRBlocks: 6
; NumSGPRsForWavesPerEU: 52
; NumVGPRsForWavesPerEU: 53
; AccumOffset: 56
; Occupancy: 8
; WaveLimiterHint : 1
; COMPUTE_PGM_RSRC2:SCRATCH_EN: 0
; COMPUTE_PGM_RSRC2:USER_SGPR: 6
; COMPUTE_PGM_RSRC2:TRAP_HANDLER: 0
; COMPUTE_PGM_RSRC2:TGID_X_EN: 1
; COMPUTE_PGM_RSRC2:TGID_Y_EN: 0
; COMPUTE_PGM_RSRC2:TGID_Z_EN: 0
; COMPUTE_PGM_RSRC2:TIDIG_COMP_CNT: 2
; COMPUTE_PGM_RSRC3_GFX90A:ACCUM_OFFSET: 13
; COMPUTE_PGM_RSRC3_GFX90A:TG_SPLIT: 0
	.section	.text._ZN7rocprim17ROCPRIM_304000_NS6detail39device_merge_sort_compile_time_verifierINS1_36wrapped_merge_sort_block_sort_configINS1_28merge_sort_block_sort_configILj256ELj4ELNS0_20block_sort_algorithmE0EEE12hip_bfloat16N2at4cuda3cub6detail10OpaqueTypeILi8EEEEENS1_37wrapped_merge_sort_block_merge_configINS0_14default_configES7_SD_EEEEvv,"axG",@progbits,_ZN7rocprim17ROCPRIM_304000_NS6detail39device_merge_sort_compile_time_verifierINS1_36wrapped_merge_sort_block_sort_configINS1_28merge_sort_block_sort_configILj256ELj4ELNS0_20block_sort_algorithmE0EEE12hip_bfloat16N2at4cuda3cub6detail10OpaqueTypeILi8EEEEENS1_37wrapped_merge_sort_block_merge_configINS0_14default_configES7_SD_EEEEvv,comdat
	.protected	_ZN7rocprim17ROCPRIM_304000_NS6detail39device_merge_sort_compile_time_verifierINS1_36wrapped_merge_sort_block_sort_configINS1_28merge_sort_block_sort_configILj256ELj4ELNS0_20block_sort_algorithmE0EEE12hip_bfloat16N2at4cuda3cub6detail10OpaqueTypeILi8EEEEENS1_37wrapped_merge_sort_block_merge_configINS0_14default_configES7_SD_EEEEvv ; -- Begin function _ZN7rocprim17ROCPRIM_304000_NS6detail39device_merge_sort_compile_time_verifierINS1_36wrapped_merge_sort_block_sort_configINS1_28merge_sort_block_sort_configILj256ELj4ELNS0_20block_sort_algorithmE0EEE12hip_bfloat16N2at4cuda3cub6detail10OpaqueTypeILi8EEEEENS1_37wrapped_merge_sort_block_merge_configINS0_14default_configES7_SD_EEEEvv
	.globl	_ZN7rocprim17ROCPRIM_304000_NS6detail39device_merge_sort_compile_time_verifierINS1_36wrapped_merge_sort_block_sort_configINS1_28merge_sort_block_sort_configILj256ELj4ELNS0_20block_sort_algorithmE0EEE12hip_bfloat16N2at4cuda3cub6detail10OpaqueTypeILi8EEEEENS1_37wrapped_merge_sort_block_merge_configINS0_14default_configES7_SD_EEEEvv
	.p2align	8
	.type	_ZN7rocprim17ROCPRIM_304000_NS6detail39device_merge_sort_compile_time_verifierINS1_36wrapped_merge_sort_block_sort_configINS1_28merge_sort_block_sort_configILj256ELj4ELNS0_20block_sort_algorithmE0EEE12hip_bfloat16N2at4cuda3cub6detail10OpaqueTypeILi8EEEEENS1_37wrapped_merge_sort_block_merge_configINS0_14default_configES7_SD_EEEEvv,@function
_ZN7rocprim17ROCPRIM_304000_NS6detail39device_merge_sort_compile_time_verifierINS1_36wrapped_merge_sort_block_sort_configINS1_28merge_sort_block_sort_configILj256ELj4ELNS0_20block_sort_algorithmE0EEE12hip_bfloat16N2at4cuda3cub6detail10OpaqueTypeILi8EEEEENS1_37wrapped_merge_sort_block_merge_configINS0_14default_configES7_SD_EEEEvv: ; @_ZN7rocprim17ROCPRIM_304000_NS6detail39device_merge_sort_compile_time_verifierINS1_36wrapped_merge_sort_block_sort_configINS1_28merge_sort_block_sort_configILj256ELj4ELNS0_20block_sort_algorithmE0EEE12hip_bfloat16N2at4cuda3cub6detail10OpaqueTypeILi8EEEEENS1_37wrapped_merge_sort_block_merge_configINS0_14default_configES7_SD_EEEEvv
; %bb.0:
	s_endpgm
	.section	.rodata,"a",@progbits
	.p2align	6, 0x0
	.amdhsa_kernel _ZN7rocprim17ROCPRIM_304000_NS6detail39device_merge_sort_compile_time_verifierINS1_36wrapped_merge_sort_block_sort_configINS1_28merge_sort_block_sort_configILj256ELj4ELNS0_20block_sort_algorithmE0EEE12hip_bfloat16N2at4cuda3cub6detail10OpaqueTypeILi8EEEEENS1_37wrapped_merge_sort_block_merge_configINS0_14default_configES7_SD_EEEEvv
		.amdhsa_group_segment_fixed_size 0
		.amdhsa_private_segment_fixed_size 0
		.amdhsa_kernarg_size 0
		.amdhsa_user_sgpr_count 4
		.amdhsa_user_sgpr_private_segment_buffer 1
		.amdhsa_user_sgpr_dispatch_ptr 0
		.amdhsa_user_sgpr_queue_ptr 0
		.amdhsa_user_sgpr_kernarg_segment_ptr 0
		.amdhsa_user_sgpr_dispatch_id 0
		.amdhsa_user_sgpr_flat_scratch_init 0
		.amdhsa_user_sgpr_kernarg_preload_length 0
		.amdhsa_user_sgpr_kernarg_preload_offset 0
		.amdhsa_user_sgpr_private_segment_size 0
		.amdhsa_uses_dynamic_stack 0
		.amdhsa_system_sgpr_private_segment_wavefront_offset 0
		.amdhsa_system_sgpr_workgroup_id_x 1
		.amdhsa_system_sgpr_workgroup_id_y 0
		.amdhsa_system_sgpr_workgroup_id_z 0
		.amdhsa_system_sgpr_workgroup_info 0
		.amdhsa_system_vgpr_workitem_id 0
		.amdhsa_next_free_vgpr 1
		.amdhsa_next_free_sgpr 0
		.amdhsa_accum_offset 4
		.amdhsa_reserve_vcc 0
		.amdhsa_reserve_flat_scratch 0
		.amdhsa_float_round_mode_32 0
		.amdhsa_float_round_mode_16_64 0
		.amdhsa_float_denorm_mode_32 3
		.amdhsa_float_denorm_mode_16_64 3
		.amdhsa_dx10_clamp 1
		.amdhsa_ieee_mode 1
		.amdhsa_fp16_overflow 0
		.amdhsa_tg_split 0
		.amdhsa_exception_fp_ieee_invalid_op 0
		.amdhsa_exception_fp_denorm_src 0
		.amdhsa_exception_fp_ieee_div_zero 0
		.amdhsa_exception_fp_ieee_overflow 0
		.amdhsa_exception_fp_ieee_underflow 0
		.amdhsa_exception_fp_ieee_inexact 0
		.amdhsa_exception_int_div_zero 0
	.end_amdhsa_kernel
	.section	.text._ZN7rocprim17ROCPRIM_304000_NS6detail39device_merge_sort_compile_time_verifierINS1_36wrapped_merge_sort_block_sort_configINS1_28merge_sort_block_sort_configILj256ELj4ELNS0_20block_sort_algorithmE0EEE12hip_bfloat16N2at4cuda3cub6detail10OpaqueTypeILi8EEEEENS1_37wrapped_merge_sort_block_merge_configINS0_14default_configES7_SD_EEEEvv,"axG",@progbits,_ZN7rocprim17ROCPRIM_304000_NS6detail39device_merge_sort_compile_time_verifierINS1_36wrapped_merge_sort_block_sort_configINS1_28merge_sort_block_sort_configILj256ELj4ELNS0_20block_sort_algorithmE0EEE12hip_bfloat16N2at4cuda3cub6detail10OpaqueTypeILi8EEEEENS1_37wrapped_merge_sort_block_merge_configINS0_14default_configES7_SD_EEEEvv,comdat
.Lfunc_end1:
	.size	_ZN7rocprim17ROCPRIM_304000_NS6detail39device_merge_sort_compile_time_verifierINS1_36wrapped_merge_sort_block_sort_configINS1_28merge_sort_block_sort_configILj256ELj4ELNS0_20block_sort_algorithmE0EEE12hip_bfloat16N2at4cuda3cub6detail10OpaqueTypeILi8EEEEENS1_37wrapped_merge_sort_block_merge_configINS0_14default_configES7_SD_EEEEvv, .Lfunc_end1-_ZN7rocprim17ROCPRIM_304000_NS6detail39device_merge_sort_compile_time_verifierINS1_36wrapped_merge_sort_block_sort_configINS1_28merge_sort_block_sort_configILj256ELj4ELNS0_20block_sort_algorithmE0EEE12hip_bfloat16N2at4cuda3cub6detail10OpaqueTypeILi8EEEEENS1_37wrapped_merge_sort_block_merge_configINS0_14default_configES7_SD_EEEEvv
                                        ; -- End function
	.section	.AMDGPU.csdata,"",@progbits
; Kernel info:
; codeLenInByte = 4
; NumSgprs: 4
; NumVgprs: 0
; NumAgprs: 0
; TotalNumVgprs: 0
; ScratchSize: 0
; MemoryBound: 0
; FloatMode: 240
; IeeeMode: 1
; LDSByteSize: 0 bytes/workgroup (compile time only)
; SGPRBlocks: 0
; VGPRBlocks: 0
; NumSGPRsForWavesPerEU: 4
; NumVGPRsForWavesPerEU: 1
; AccumOffset: 4
; Occupancy: 8
; WaveLimiterHint : 0
; COMPUTE_PGM_RSRC2:SCRATCH_EN: 0
; COMPUTE_PGM_RSRC2:USER_SGPR: 4
; COMPUTE_PGM_RSRC2:TRAP_HANDLER: 0
; COMPUTE_PGM_RSRC2:TGID_X_EN: 1
; COMPUTE_PGM_RSRC2:TGID_Y_EN: 0
; COMPUTE_PGM_RSRC2:TGID_Z_EN: 0
; COMPUTE_PGM_RSRC2:TIDIG_COMP_CNT: 0
; COMPUTE_PGM_RSRC3_GFX90A:ACCUM_OFFSET: 0
; COMPUTE_PGM_RSRC3_GFX90A:TG_SPLIT: 0
	.section	.text._ZN7rocprim17ROCPRIM_304000_NS6detail45device_block_merge_mergepath_partition_kernelINS1_37wrapped_merge_sort_block_merge_configINS0_14default_configE12hip_bfloat16N2at4cuda3cub6detail10OpaqueTypeILi8EEEEEPS5_jNS1_19radix_merge_compareILb1ELb0ES5_NS0_19identity_decomposerEEEEEvT0_T1_jPSI_T2_SI_,"axG",@progbits,_ZN7rocprim17ROCPRIM_304000_NS6detail45device_block_merge_mergepath_partition_kernelINS1_37wrapped_merge_sort_block_merge_configINS0_14default_configE12hip_bfloat16N2at4cuda3cub6detail10OpaqueTypeILi8EEEEEPS5_jNS1_19radix_merge_compareILb1ELb0ES5_NS0_19identity_decomposerEEEEEvT0_T1_jPSI_T2_SI_,comdat
	.protected	_ZN7rocprim17ROCPRIM_304000_NS6detail45device_block_merge_mergepath_partition_kernelINS1_37wrapped_merge_sort_block_merge_configINS0_14default_configE12hip_bfloat16N2at4cuda3cub6detail10OpaqueTypeILi8EEEEEPS5_jNS1_19radix_merge_compareILb1ELb0ES5_NS0_19identity_decomposerEEEEEvT0_T1_jPSI_T2_SI_ ; -- Begin function _ZN7rocprim17ROCPRIM_304000_NS6detail45device_block_merge_mergepath_partition_kernelINS1_37wrapped_merge_sort_block_merge_configINS0_14default_configE12hip_bfloat16N2at4cuda3cub6detail10OpaqueTypeILi8EEEEEPS5_jNS1_19radix_merge_compareILb1ELb0ES5_NS0_19identity_decomposerEEEEEvT0_T1_jPSI_T2_SI_
	.globl	_ZN7rocprim17ROCPRIM_304000_NS6detail45device_block_merge_mergepath_partition_kernelINS1_37wrapped_merge_sort_block_merge_configINS0_14default_configE12hip_bfloat16N2at4cuda3cub6detail10OpaqueTypeILi8EEEEEPS5_jNS1_19radix_merge_compareILb1ELb0ES5_NS0_19identity_decomposerEEEEEvT0_T1_jPSI_T2_SI_
	.p2align	8
	.type	_ZN7rocprim17ROCPRIM_304000_NS6detail45device_block_merge_mergepath_partition_kernelINS1_37wrapped_merge_sort_block_merge_configINS0_14default_configE12hip_bfloat16N2at4cuda3cub6detail10OpaqueTypeILi8EEEEEPS5_jNS1_19radix_merge_compareILb1ELb0ES5_NS0_19identity_decomposerEEEEEvT0_T1_jPSI_T2_SI_,@function
_ZN7rocprim17ROCPRIM_304000_NS6detail45device_block_merge_mergepath_partition_kernelINS1_37wrapped_merge_sort_block_merge_configINS0_14default_configE12hip_bfloat16N2at4cuda3cub6detail10OpaqueTypeILi8EEEEEPS5_jNS1_19radix_merge_compareILb1ELb0ES5_NS0_19identity_decomposerEEEEEvT0_T1_jPSI_T2_SI_: ; @_ZN7rocprim17ROCPRIM_304000_NS6detail45device_block_merge_mergepath_partition_kernelINS1_37wrapped_merge_sort_block_merge_configINS0_14default_configE12hip_bfloat16N2at4cuda3cub6detail10OpaqueTypeILi8EEEEEPS5_jNS1_19radix_merge_compareILb1ELb0ES5_NS0_19identity_decomposerEEEEEvT0_T1_jPSI_T2_SI_
; %bb.0:
	s_load_dwordx2 s[0:1], s[4:5], 0x8
	v_lshl_or_b32 v0, s6, 7, v0
	s_waitcnt lgkmcnt(0)
	v_cmp_gt_u32_e32 vcc, s1, v0
	s_and_saveexec_b64 s[2:3], vcc
	s_cbranch_execz .LBB2_6
; %bb.1:
	s_load_dword s1, s[4:5], 0x1c
	s_waitcnt lgkmcnt(0)
	s_lshr_b32 s2, s1, 9
	s_and_b32 s2, s2, 0x7ffffe
	s_add_i32 s3, s2, -1
	s_sub_i32 s2, 0, s2
	v_and_b32_e32 v1, s2, v0
	v_and_b32_e32 v2, s3, v0
	v_lshlrev_b32_e32 v1, 10, v1
	v_lshlrev_b32_e32 v3, 10, v2
	v_min_u32_e32 v2, s0, v1
	v_add_u32_e32 v1, s1, v1
	v_min_u32_e32 v4, s0, v1
	v_add_u32_e32 v1, s1, v4
	v_min_u32_e32 v1, s0, v1
	v_sub_u32_e32 v5, v1, v2
	v_min_u32_e32 v6, v5, v3
	v_sub_u32_e32 v3, v4, v2
	v_sub_u32_e32 v1, v1, v4
	v_sub_u32_e64 v1, v6, v1 clamp
	v_min_u32_e32 v7, v6, v3
	v_cmp_lt_u32_e32 vcc, v1, v7
	s_and_saveexec_b64 s[0:1], vcc
	s_cbranch_execz .LBB2_5
; %bb.2:
	s_load_dwordx2 s[2:3], s[4:5], 0x0
	v_mov_b32_e32 v5, 0
	v_mov_b32_e32 v3, v5
	v_lshlrev_b64 v[8:9], 1, v[2:3]
	v_lshlrev_b64 v[10:11], 1, v[4:5]
	s_waitcnt lgkmcnt(0)
	v_mov_b32_e32 v12, s3
	v_add_co_u32_e32 v3, vcc, s2, v8
	v_addc_co_u32_e32 v8, vcc, v12, v9, vcc
	v_add_co_u32_e32 v9, vcc, s2, v10
	v_addc_co_u32_e32 v10, vcc, v12, v11, vcc
	s_mov_b64 s[2:3], 0
	s_movk_i32 s6, 0x8000
	v_mov_b32_e32 v11, 0xffff8000
.LBB2_3:                                ; =>This Inner Loop Header: Depth=1
	v_add_u32_e32 v4, v7, v1
	v_and_b32_e32 v12, -2, v4
	v_lshrrev_b32_e32 v14, 1, v4
	v_add_co_u32_e32 v12, vcc, v3, v12
	v_xad_u32 v4, v14, -1, v6
	v_addc_co_u32_e32 v13, vcc, 0, v8, vcc
	global_load_ushort v15, v[12:13], off
	v_lshlrev_b64 v[12:13], 1, v[4:5]
	v_add_co_u32_e32 v12, vcc, v9, v12
	v_addc_co_u32_e32 v13, vcc, v10, v13, vcc
	global_load_ushort v4, v[12:13], off
	v_add_u32_e32 v12, 1, v14
	s_waitcnt vmcnt(1)
	v_cmp_ne_u16_e32 vcc, s6, v15
	v_cndmask_b32_e32 v13, 0, v15, vcc
	v_cmp_lt_i16_e32 vcc, -1, v13
	v_cndmask_b32_e32 v15, -1, v11, vcc
	v_xor_b32_e32 v13, v15, v13
	s_waitcnt vmcnt(0)
	v_cmp_ne_u16_e32 vcc, s6, v4
	v_cndmask_b32_e32 v4, 0, v4, vcc
	v_cmp_lt_i16_e32 vcc, -1, v4
	v_cndmask_b32_e32 v15, -1, v11, vcc
	v_xor_b32_e32 v4, v15, v4
	v_cmp_gt_u16_e32 vcc, v4, v13
	v_cndmask_b32_e32 v7, v7, v14, vcc
	v_cndmask_b32_e32 v1, v12, v1, vcc
	v_cmp_ge_u32_e32 vcc, v1, v7
	s_or_b64 s[2:3], vcc, s[2:3]
	s_andn2_b64 exec, exec, s[2:3]
	s_cbranch_execnz .LBB2_3
; %bb.4:
	s_or_b64 exec, exec, s[2:3]
.LBB2_5:
	s_or_b64 exec, exec, s[0:1]
	s_load_dwordx2 s[0:1], s[4:5], 0x10
	v_add_u32_e32 v2, v1, v2
	v_mov_b32_e32 v1, 0
	v_lshlrev_b64 v[0:1], 2, v[0:1]
	s_waitcnt lgkmcnt(0)
	v_mov_b32_e32 v3, s1
	v_add_co_u32_e32 v0, vcc, s0, v0
	v_addc_co_u32_e32 v1, vcc, v3, v1, vcc
	global_store_dword v[0:1], v2, off
.LBB2_6:
	s_endpgm
	.section	.rodata,"a",@progbits
	.p2align	6, 0x0
	.amdhsa_kernel _ZN7rocprim17ROCPRIM_304000_NS6detail45device_block_merge_mergepath_partition_kernelINS1_37wrapped_merge_sort_block_merge_configINS0_14default_configE12hip_bfloat16N2at4cuda3cub6detail10OpaqueTypeILi8EEEEEPS5_jNS1_19radix_merge_compareILb1ELb0ES5_NS0_19identity_decomposerEEEEEvT0_T1_jPSI_T2_SI_
		.amdhsa_group_segment_fixed_size 0
		.amdhsa_private_segment_fixed_size 0
		.amdhsa_kernarg_size 32
		.amdhsa_user_sgpr_count 6
		.amdhsa_user_sgpr_private_segment_buffer 1
		.amdhsa_user_sgpr_dispatch_ptr 0
		.amdhsa_user_sgpr_queue_ptr 0
		.amdhsa_user_sgpr_kernarg_segment_ptr 1
		.amdhsa_user_sgpr_dispatch_id 0
		.amdhsa_user_sgpr_flat_scratch_init 0
		.amdhsa_user_sgpr_kernarg_preload_length 0
		.amdhsa_user_sgpr_kernarg_preload_offset 0
		.amdhsa_user_sgpr_private_segment_size 0
		.amdhsa_uses_dynamic_stack 0
		.amdhsa_system_sgpr_private_segment_wavefront_offset 0
		.amdhsa_system_sgpr_workgroup_id_x 1
		.amdhsa_system_sgpr_workgroup_id_y 0
		.amdhsa_system_sgpr_workgroup_id_z 0
		.amdhsa_system_sgpr_workgroup_info 0
		.amdhsa_system_vgpr_workitem_id 0
		.amdhsa_next_free_vgpr 16
		.amdhsa_next_free_sgpr 7
		.amdhsa_accum_offset 16
		.amdhsa_reserve_vcc 1
		.amdhsa_reserve_flat_scratch 0
		.amdhsa_float_round_mode_32 0
		.amdhsa_float_round_mode_16_64 0
		.amdhsa_float_denorm_mode_32 3
		.amdhsa_float_denorm_mode_16_64 3
		.amdhsa_dx10_clamp 1
		.amdhsa_ieee_mode 1
		.amdhsa_fp16_overflow 0
		.amdhsa_tg_split 0
		.amdhsa_exception_fp_ieee_invalid_op 0
		.amdhsa_exception_fp_denorm_src 0
		.amdhsa_exception_fp_ieee_div_zero 0
		.amdhsa_exception_fp_ieee_overflow 0
		.amdhsa_exception_fp_ieee_underflow 0
		.amdhsa_exception_fp_ieee_inexact 0
		.amdhsa_exception_int_div_zero 0
	.end_amdhsa_kernel
	.section	.text._ZN7rocprim17ROCPRIM_304000_NS6detail45device_block_merge_mergepath_partition_kernelINS1_37wrapped_merge_sort_block_merge_configINS0_14default_configE12hip_bfloat16N2at4cuda3cub6detail10OpaqueTypeILi8EEEEEPS5_jNS1_19radix_merge_compareILb1ELb0ES5_NS0_19identity_decomposerEEEEEvT0_T1_jPSI_T2_SI_,"axG",@progbits,_ZN7rocprim17ROCPRIM_304000_NS6detail45device_block_merge_mergepath_partition_kernelINS1_37wrapped_merge_sort_block_merge_configINS0_14default_configE12hip_bfloat16N2at4cuda3cub6detail10OpaqueTypeILi8EEEEEPS5_jNS1_19radix_merge_compareILb1ELb0ES5_NS0_19identity_decomposerEEEEEvT0_T1_jPSI_T2_SI_,comdat
.Lfunc_end2:
	.size	_ZN7rocprim17ROCPRIM_304000_NS6detail45device_block_merge_mergepath_partition_kernelINS1_37wrapped_merge_sort_block_merge_configINS0_14default_configE12hip_bfloat16N2at4cuda3cub6detail10OpaqueTypeILi8EEEEEPS5_jNS1_19radix_merge_compareILb1ELb0ES5_NS0_19identity_decomposerEEEEEvT0_T1_jPSI_T2_SI_, .Lfunc_end2-_ZN7rocprim17ROCPRIM_304000_NS6detail45device_block_merge_mergepath_partition_kernelINS1_37wrapped_merge_sort_block_merge_configINS0_14default_configE12hip_bfloat16N2at4cuda3cub6detail10OpaqueTypeILi8EEEEEPS5_jNS1_19radix_merge_compareILb1ELb0ES5_NS0_19identity_decomposerEEEEEvT0_T1_jPSI_T2_SI_
                                        ; -- End function
	.section	.AMDGPU.csdata,"",@progbits
; Kernel info:
; codeLenInByte = 412
; NumSgprs: 11
; NumVgprs: 16
; NumAgprs: 0
; TotalNumVgprs: 16
; ScratchSize: 0
; MemoryBound: 0
; FloatMode: 240
; IeeeMode: 1
; LDSByteSize: 0 bytes/workgroup (compile time only)
; SGPRBlocks: 1
; VGPRBlocks: 1
; NumSGPRsForWavesPerEU: 11
; NumVGPRsForWavesPerEU: 16
; AccumOffset: 16
; Occupancy: 8
; WaveLimiterHint : 0
; COMPUTE_PGM_RSRC2:SCRATCH_EN: 0
; COMPUTE_PGM_RSRC2:USER_SGPR: 6
; COMPUTE_PGM_RSRC2:TRAP_HANDLER: 0
; COMPUTE_PGM_RSRC2:TGID_X_EN: 1
; COMPUTE_PGM_RSRC2:TGID_Y_EN: 0
; COMPUTE_PGM_RSRC2:TGID_Z_EN: 0
; COMPUTE_PGM_RSRC2:TIDIG_COMP_CNT: 0
; COMPUTE_PGM_RSRC3_GFX90A:ACCUM_OFFSET: 3
; COMPUTE_PGM_RSRC3_GFX90A:TG_SPLIT: 0
	.section	.text._ZN7rocprim17ROCPRIM_304000_NS6detail35device_block_merge_mergepath_kernelINS1_37wrapped_merge_sort_block_merge_configINS0_14default_configE12hip_bfloat16N2at4cuda3cub6detail10OpaqueTypeILi8EEEEEPS5_SD_PSB_SE_jNS1_19radix_merge_compareILb1ELb0ES5_NS0_19identity_decomposerEEEEEvT0_T1_T2_T3_T4_SM_jT5_PKSM_NS1_7vsmem_tE,"axG",@progbits,_ZN7rocprim17ROCPRIM_304000_NS6detail35device_block_merge_mergepath_kernelINS1_37wrapped_merge_sort_block_merge_configINS0_14default_configE12hip_bfloat16N2at4cuda3cub6detail10OpaqueTypeILi8EEEEEPS5_SD_PSB_SE_jNS1_19radix_merge_compareILb1ELb0ES5_NS0_19identity_decomposerEEEEEvT0_T1_T2_T3_T4_SM_jT5_PKSM_NS1_7vsmem_tE,comdat
	.protected	_ZN7rocprim17ROCPRIM_304000_NS6detail35device_block_merge_mergepath_kernelINS1_37wrapped_merge_sort_block_merge_configINS0_14default_configE12hip_bfloat16N2at4cuda3cub6detail10OpaqueTypeILi8EEEEEPS5_SD_PSB_SE_jNS1_19radix_merge_compareILb1ELb0ES5_NS0_19identity_decomposerEEEEEvT0_T1_T2_T3_T4_SM_jT5_PKSM_NS1_7vsmem_tE ; -- Begin function _ZN7rocprim17ROCPRIM_304000_NS6detail35device_block_merge_mergepath_kernelINS1_37wrapped_merge_sort_block_merge_configINS0_14default_configE12hip_bfloat16N2at4cuda3cub6detail10OpaqueTypeILi8EEEEEPS5_SD_PSB_SE_jNS1_19radix_merge_compareILb1ELb0ES5_NS0_19identity_decomposerEEEEEvT0_T1_T2_T3_T4_SM_jT5_PKSM_NS1_7vsmem_tE
	.globl	_ZN7rocprim17ROCPRIM_304000_NS6detail35device_block_merge_mergepath_kernelINS1_37wrapped_merge_sort_block_merge_configINS0_14default_configE12hip_bfloat16N2at4cuda3cub6detail10OpaqueTypeILi8EEEEEPS5_SD_PSB_SE_jNS1_19radix_merge_compareILb1ELb0ES5_NS0_19identity_decomposerEEEEEvT0_T1_T2_T3_T4_SM_jT5_PKSM_NS1_7vsmem_tE
	.p2align	8
	.type	_ZN7rocprim17ROCPRIM_304000_NS6detail35device_block_merge_mergepath_kernelINS1_37wrapped_merge_sort_block_merge_configINS0_14default_configE12hip_bfloat16N2at4cuda3cub6detail10OpaqueTypeILi8EEEEEPS5_SD_PSB_SE_jNS1_19radix_merge_compareILb1ELb0ES5_NS0_19identity_decomposerEEEEEvT0_T1_T2_T3_T4_SM_jT5_PKSM_NS1_7vsmem_tE,@function
_ZN7rocprim17ROCPRIM_304000_NS6detail35device_block_merge_mergepath_kernelINS1_37wrapped_merge_sort_block_merge_configINS0_14default_configE12hip_bfloat16N2at4cuda3cub6detail10OpaqueTypeILi8EEEEEPS5_SD_PSB_SE_jNS1_19radix_merge_compareILb1ELb0ES5_NS0_19identity_decomposerEEEEEvT0_T1_T2_T3_T4_SM_jT5_PKSM_NS1_7vsmem_tE: ; @_ZN7rocprim17ROCPRIM_304000_NS6detail35device_block_merge_mergepath_kernelINS1_37wrapped_merge_sort_block_merge_configINS0_14default_configE12hip_bfloat16N2at4cuda3cub6detail10OpaqueTypeILi8EEEEEPS5_SD_PSB_SE_jNS1_19radix_merge_compareILb1ELb0ES5_NS0_19identity_decomposerEEEEEvT0_T1_T2_T3_T4_SM_jT5_PKSM_NS1_7vsmem_tE
; %bb.0:
	s_load_dwordx2 s[26:27], s[4:5], 0x40
	s_load_dwordx4 s[16:19], s[4:5], 0x20
	s_add_u32 s2, s4, 64
	s_addc_u32 s3, s5, 0
	s_waitcnt lgkmcnt(0)
	s_mul_i32 s0, s27, s8
	s_add_i32 s0, s0, s7
	s_mul_i32 s0, s0, s26
	s_add_i32 s0, s0, s6
	s_cmp_ge_u32 s0, s18
	s_cbranch_scc1 .LBB3_91
; %bb.1:
	s_load_dwordx8 s[8:15], s[4:5], 0x0
	s_load_dwordx2 s[18:19], s[4:5], 0x30
	s_lshr_b32 s29, s16, 10
	s_cmp_lg_u32 s0, s29
	s_mov_b32 s1, 0
	s_cselect_b64 s[20:21], -1, 0
	s_lshl_b64 s[4:5], s[0:1], 2
	s_waitcnt lgkmcnt(0)
	s_add_u32 s4, s18, s4
	s_addc_u32 s5, s19, s5
	s_load_dwordx2 s[22:23], s[4:5], 0x0
	s_lshr_b32 s4, s17, 9
	s_and_b32 s4, s4, 0x7ffffe
	s_sub_i32 s4, 0, s4
	s_and_b32 s5, s0, s4
	s_lshl_b32 s7, s5, 10
	s_lshl_b32 s18, s0, 10
	;; [unrolled: 1-line block ×3, first 2 shown]
	s_sub_i32 s19, s18, s7
	s_add_i32 s5, s5, s17
	s_add_i32 s19, s5, s19
	s_waitcnt lgkmcnt(0)
	s_sub_i32 s24, s19, s22
	s_sub_i32 s19, s19, s23
	;; [unrolled: 1-line block ×3, first 2 shown]
	s_min_u32 s24, s16, s24
	s_addk_i32 s19, 0x400
	s_or_b32 s4, s0, s4
	s_min_u32 s7, s16, s5
	s_add_i32 s5, s5, s17
	s_cmp_eq_u32 s4, -1
	s_cselect_b32 s4, s5, s19
	s_cselect_b32 s5, s7, s23
	s_min_u32 s4, s4, s16
	s_mov_b32 s23, s1
	s_sub_i32 s17, s5, s22
	s_sub_i32 s19, s4, s24
	s_lshl_b64 s[4:5], s[22:23], 1
	s_add_u32 s27, s8, s4
	s_mov_b32 s25, s1
	s_addc_u32 s28, s9, s5
	s_lshl_b64 s[4:5], s[24:25], 1
	s_add_u32 s7, s8, s4
	s_addc_u32 s8, s9, s5
	s_cmp_lt_u32 s6, s26
	v_mov_b32_e32 v7, 0
	s_cselect_b32 s1, 12, 18
	global_load_dword v1, v7, s[2:3] offset:14
	s_add_u32 s2, s2, s1
	s_addc_u32 s3, s3, 0
	global_load_ushort v2, v7, s[2:3]
	v_cmp_gt_u32_e32 vcc, s17, v0
	s_cmp_eq_u32 s0, s29
	s_waitcnt vmcnt(1)
	v_lshrrev_b32_e32 v3, 16, v1
	v_and_b32_e32 v1, 0xffff, v1
	v_mul_lo_u32 v1, v1, v3
	s_waitcnt vmcnt(0)
	v_mul_lo_u32 v10, v1, v2
	v_add_u32_e32 v4, v10, v0
	v_lshlrev_b32_e32 v1, 1, v0
	v_add_u32_e32 v2, v4, v10
	s_cbranch_scc1 .LBB3_3
; %bb.2:
	v_mov_b32_e32 v3, s28
	v_add_co_u32_e64 v5, s[0:1], s27, v1
	v_subrev_u32_e32 v6, s17, v0
	v_addc_co_u32_e64 v3, s[0:1], 0, v3, s[0:1]
	v_lshlrev_b64 v[8:9], 1, v[6:7]
	v_add_co_u32_e64 v8, s[0:1], s7, v8
	v_mov_b32_e32 v6, s8
	v_cndmask_b32_e32 v8, v8, v5, vcc
	v_mov_b32_e32 v5, v7
	v_addc_co_u32_e64 v6, s[0:1], v6, v9, s[0:1]
	v_lshlrev_b64 v[12:13], 1, v[4:5]
	v_cndmask_b32_e32 v9, v6, v3, vcc
	v_mov_b32_e32 v3, s28
	v_add_co_u32_e32 v5, vcc, s27, v12
	v_subrev_u32_e32 v6, s17, v4
	v_addc_co_u32_e32 v3, vcc, v3, v13, vcc
	v_lshlrev_b64 v[12:13], 1, v[6:7]
	global_load_ushort v8, v[8:9], off
	v_mov_b32_e32 v6, s8
	v_add_co_u32_e32 v9, vcc, s7, v12
	v_addc_co_u32_e32 v6, vcc, v6, v13, vcc
	v_cmp_gt_u32_e32 vcc, s17, v4
	v_cndmask_b32_e32 v13, v6, v3, vcc
	v_cndmask_b32_e32 v12, v9, v5, vcc
	v_mov_b32_e32 v3, v7
	global_load_ushort v9, v[12:13], off
	v_lshlrev_b64 v[12:13], 1, v[2:3]
	v_mov_b32_e32 v3, s28
	v_add_co_u32_e32 v5, vcc, s27, v12
	v_subrev_u32_e32 v6, s17, v2
	v_addc_co_u32_e32 v3, vcc, v3, v13, vcc
	v_lshlrev_b64 v[12:13], 1, v[6:7]
	v_mov_b32_e32 v6, s8
	v_add_co_u32_e32 v11, vcc, s7, v12
	v_addc_co_u32_e32 v6, vcc, v6, v13, vcc
	v_cmp_gt_u32_e32 vcc, s17, v2
	v_cndmask_b32_e32 v13, v6, v3, vcc
	v_cndmask_b32_e32 v12, v11, v5, vcc
	global_load_ushort v11, v[12:13], off
	v_add_u32_e32 v6, v2, v10
	v_lshlrev_b64 v[12:13], 1, v[6:7]
	v_mov_b32_e32 v3, s28
	v_add_co_u32_e32 v5, vcc, s27, v12
	v_addc_co_u32_e32 v3, vcc, v3, v13, vcc
	v_cmp_gt_u32_e32 vcc, s17, v6
	v_subrev_u32_e32 v6, s17, v6
	v_lshlrev_b64 v[6:7], 1, v[6:7]
	v_mov_b32_e32 v12, s8
	v_add_co_u32_e64 v6, s[0:1], s7, v6
	v_addc_co_u32_e64 v7, s[0:1], v12, v7, s[0:1]
	v_cndmask_b32_e32 v7, v7, v3, vcc
	v_cndmask_b32_e32 v6, v6, v5, vcc
	s_add_i32 s6, s19, s17
	s_mov_b64 s[2:3], -1
	s_cbranch_execz .LBB3_4
	s_branch .LBB3_13
.LBB3_3:
	s_mov_b64 s[2:3], 0
                                        ; implicit-def: $vgpr6_vgpr7
                                        ; implicit-def: $vgpr11
                                        ; implicit-def: $vgpr9
                                        ; implicit-def: $vgpr8
                                        ; implicit-def: $sgpr6
.LBB3_4:
	s_add_i32 s6, s19, s17
	v_cmp_gt_u32_e32 vcc, s6, v0
                                        ; implicit-def: $vgpr8
	s_and_saveexec_b64 s[0:1], vcc
	s_cbranch_execz .LBB3_6
; %bb.5:
	v_mov_b32_e32 v7, 0
	v_mov_b32_e32 v3, s28
	v_add_co_u32_e32 v5, vcc, s27, v1
	v_subrev_u32_e32 v6, s17, v0
	v_addc_co_u32_e32 v3, vcc, 0, v3, vcc
	v_lshlrev_b64 v[6:7], 1, v[6:7]
	s_waitcnt vmcnt(2)
	v_mov_b32_e32 v8, s8
	v_add_co_u32_e32 v6, vcc, s7, v6
	v_addc_co_u32_e32 v7, vcc, v8, v7, vcc
	v_cmp_gt_u32_e32 vcc, s17, v0
	v_cndmask_b32_e32 v7, v7, v3, vcc
	v_cndmask_b32_e32 v6, v6, v5, vcc
	global_load_ushort v8, v[6:7], off
.LBB3_6:
	s_or_b64 exec, exec, s[0:1]
	v_cmp_gt_u32_e32 vcc, s6, v4
                                        ; implicit-def: $vgpr9
	s_and_saveexec_b64 s[4:5], vcc
	s_cbranch_execz .LBB3_8
; %bb.7:
	v_mov_b32_e32 v5, 0
	v_lshlrev_b64 v[6:7], 1, v[4:5]
	v_mov_b32_e32 v3, s28
	v_add_co_u32_e32 v6, vcc, s27, v6
	v_addc_co_u32_e32 v3, vcc, v3, v7, vcc
	v_cmp_gt_u32_e32 vcc, s17, v4
	v_subrev_u32_e32 v4, s17, v4
	v_lshlrev_b64 v[4:5], 1, v[4:5]
	v_mov_b32_e32 v7, s8
	v_add_co_u32_e64 v4, s[0:1], s7, v4
	v_addc_co_u32_e64 v5, s[0:1], v7, v5, s[0:1]
	v_cndmask_b32_e32 v5, v5, v3, vcc
	v_cndmask_b32_e32 v4, v4, v6, vcc
	global_load_ushort v9, v[4:5], off
.LBB3_8:
	s_or_b64 exec, exec, s[4:5]
	v_cmp_gt_u32_e32 vcc, s6, v2
                                        ; implicit-def: $vgpr11
	s_and_saveexec_b64 s[0:1], vcc
	s_cbranch_execz .LBB3_10
; %bb.9:
	v_mov_b32_e32 v3, 0
	v_lshlrev_b64 v[4:5], 1, v[2:3]
	v_mov_b32_e32 v6, s28
	v_add_co_u32_e32 v7, vcc, s27, v4
	v_addc_co_u32_e32 v6, vcc, v6, v5, vcc
	v_subrev_u32_e32 v4, s17, v2
	v_mov_b32_e32 v5, v3
	v_lshlrev_b64 v[4:5], 1, v[4:5]
	v_mov_b32_e32 v3, s8
	v_add_co_u32_e32 v4, vcc, s7, v4
	v_addc_co_u32_e32 v3, vcc, v3, v5, vcc
	v_cmp_gt_u32_e32 vcc, s17, v2
	v_cndmask_b32_e32 v5, v3, v6, vcc
	v_cndmask_b32_e32 v4, v4, v7, vcc
	global_load_ushort v11, v[4:5], off
.LBB3_10:
	s_or_b64 exec, exec, s[0:1]
	v_add_u32_e32 v2, v2, v10
	v_cmp_gt_u32_e32 vcc, s6, v2
                                        ; implicit-def: $vgpr6_vgpr7
	s_and_saveexec_b64 s[4:5], vcc
	s_cbranch_execz .LBB3_12
; %bb.11:
	v_mov_b32_e32 v3, 0
	v_lshlrev_b64 v[4:5], 1, v[2:3]
	v_mov_b32_e32 v6, s28
	v_add_co_u32_e32 v4, vcc, s27, v4
	v_addc_co_u32_e32 v5, vcc, v6, v5, vcc
	v_cmp_gt_u32_e32 vcc, s17, v2
	v_subrev_u32_e32 v2, s17, v2
	v_lshlrev_b64 v[2:3], 1, v[2:3]
	v_mov_b32_e32 v6, s8
	v_add_co_u32_e64 v2, s[0:1], s7, v2
	v_addc_co_u32_e64 v3, s[0:1], v6, v3, s[0:1]
	v_cndmask_b32_e32 v7, v3, v5, vcc
	v_cndmask_b32_e32 v6, v2, v4, vcc
	s_or_b64 s[2:3], s[2:3], exec
.LBB3_12:
	s_or_b64 exec, exec, s[4:5]
.LBB3_13:
	v_mov_b32_e32 v10, s6
                                        ; implicit-def: $vgpr12
	s_and_saveexec_b64 s[0:1], s[2:3]
	s_cbranch_execz .LBB3_15
; %bb.14:
	global_load_ushort v12, v[6:7], off
	v_mov_b32_e32 v10, s6
.LBB3_15:
	s_or_b64 exec, exec, s[0:1]
	v_lshlrev_b32_e32 v6, 2, v0
	v_min_u32_e32 v2, v10, v6
	v_sub_u32_e64 v4, v2, s19 clamp
	v_min_u32_e32 v3, s17, v2
	v_cmp_lt_u32_e32 vcc, v4, v3
	s_waitcnt vmcnt(0)
	ds_write_b16 v1, v8
	ds_write_b16 v1, v9 offset:512
	ds_write_b16 v1, v11 offset:1024
	;; [unrolled: 1-line block ×3, first 2 shown]
	s_waitcnt lgkmcnt(0)
	s_barrier
	s_and_saveexec_b64 s[0:1], vcc
	s_cbranch_execz .LBB3_19
; %bb.16:
	v_lshlrev_b32_e32 v5, 1, v2
	v_lshl_add_u32 v5, s17, 1, v5
	s_mov_b64 s[2:3], 0
	s_movk_i32 s4, 0x8000
	v_mov_b32_e32 v7, 0xffff8000
.LBB3_17:                               ; =>This Inner Loop Header: Depth=1
	v_add_u32_e32 v13, v3, v4
	v_lshrrev_b32_e32 v14, 1, v13
	v_and_b32_e32 v13, -2, v13
	ds_read_u16 v13, v13
	v_not_b32_e32 v15, v14
	v_lshl_add_u32 v15, v15, 1, v5
	ds_read_u16 v15, v15
	v_add_u32_e32 v16, 1, v14
	s_waitcnt lgkmcnt(1)
	v_cmp_ne_u16_e32 vcc, s4, v13
	v_cndmask_b32_e32 v13, 0, v13, vcc
	v_cmp_lt_i16_e32 vcc, -1, v13
	v_cndmask_b32_e32 v17, -1, v7, vcc
	s_waitcnt lgkmcnt(0)
	v_cmp_ne_u16_e32 vcc, s4, v15
	v_cndmask_b32_e32 v15, 0, v15, vcc
	v_cmp_lt_i16_e32 vcc, -1, v15
	v_xor_b32_e32 v13, v17, v13
	v_cndmask_b32_e32 v17, -1, v7, vcc
	v_xor_b32_e32 v15, v17, v15
	v_cmp_gt_u16_e32 vcc, v15, v13
	v_cndmask_b32_e32 v3, v3, v14, vcc
	v_cndmask_b32_e32 v4, v16, v4, vcc
	v_cmp_ge_u32_e32 vcc, v4, v3
	s_or_b64 s[2:3], vcc, s[2:3]
	s_andn2_b64 exec, exec, s[2:3]
	s_cbranch_execnz .LBB3_17
; %bb.18:
	s_or_b64 exec, exec, s[2:3]
.LBB3_19:
	s_or_b64 exec, exec, s[0:1]
	v_sub_u32_e32 v2, v2, v4
	v_add_u32_e32 v5, s17, v2
	v_cmp_ge_u32_e32 vcc, s17, v4
	v_cmp_le_u32_e64 s[0:1], v5, v10
	s_or_b64 s[0:1], vcc, s[0:1]
                                        ; implicit-def: $vgpr14
                                        ; implicit-def: $vgpr15
                                        ; implicit-def: $vgpr13
                                        ; implicit-def: $vgpr7
	s_and_saveexec_b64 s[2:3], s[0:1]
	s_cbranch_execz .LBB3_39
; %bb.20:
	v_cmp_le_u32_e32 vcc, s17, v4
	v_cmp_gt_u32_e64 s[0:1], s17, v4
                                        ; implicit-def: $vgpr2
	s_and_saveexec_b64 s[4:5], s[0:1]
	s_cbranch_execz .LBB3_22
; %bb.21:
	v_lshlrev_b32_e32 v2, 1, v4
	ds_read_u16 v2, v2
.LBB3_22:
	s_or_b64 exec, exec, s[4:5]
	v_cmp_ge_u32_e64 s[4:5], v5, v10
	v_cmp_lt_u32_e64 s[0:1], v5, v10
                                        ; implicit-def: $vgpr3
	s_and_saveexec_b64 s[6:7], s[0:1]
	s_cbranch_execz .LBB3_24
; %bb.23:
	v_lshlrev_b32_e32 v3, 1, v5
	ds_read_u16 v3, v3
.LBB3_24:
	s_or_b64 exec, exec, s[6:7]
	s_or_b64 s[6:7], vcc, s[4:5]
	s_mov_b64 s[0:1], -1
	s_xor_b64 s[8:9], s[6:7], -1
	s_and_saveexec_b64 s[6:7], s[8:9]
	s_cbranch_execz .LBB3_26
; %bb.25:
	s_movk_i32 s8, 0x8000
	s_waitcnt lgkmcnt(0)
	v_cmp_ne_u16_e32 vcc, s8, v3
	v_cndmask_b32_e32 v7, 0, v3, vcc
	v_cmp_ne_u16_e32 vcc, s8, v2
	v_cndmask_b32_e32 v8, 0, v2, vcc
	v_mov_b32_e32 v9, 0xffff8000
	v_cmp_lt_i16_e32 vcc, -1, v7
	v_cndmask_b32_e32 v11, -1, v9, vcc
	v_cmp_lt_i16_e32 vcc, -1, v8
	v_cndmask_b32_e32 v9, -1, v9, vcc
	v_xor_b32_e32 v7, v11, v7
	v_xor_b32_e32 v8, v9, v8
	v_cmp_le_u16_e32 vcc, v7, v8
	s_andn2_b64 s[4:5], s[4:5], exec
	s_and_b64 s[8:9], vcc, exec
	s_or_b64 s[4:5], s[4:5], s[8:9]
.LBB3_26:
	s_or_b64 exec, exec, s[6:7]
	v_mov_b32_e32 v8, s17
	v_cndmask_b32_e64 v7, v5, v4, s[4:5]
	v_cndmask_b32_e64 v8, v10, v8, s[4:5]
	v_add_u32_e32 v11, 1, v7
	v_add_u32_e32 v8, -1, v8
	v_min_u32_e32 v8, v11, v8
	v_lshlrev_b32_e32 v8, 1, v8
	ds_read_u16 v8, v8
	v_cndmask_b32_e64 v9, v11, v5, s[4:5]
	v_cndmask_b32_e64 v12, v4, v11, s[4:5]
	v_cmp_lt_u32_e32 vcc, v9, v10
	s_waitcnt lgkmcnt(0)
	v_cndmask_b32_e64 v5, v8, v3, s[4:5]
	v_cndmask_b32_e64 v8, v2, v8, s[4:5]
	s_and_saveexec_b64 s[6:7], vcc
	s_cbranch_execz .LBB3_30
; %bb.27:
	v_cmp_gt_u32_e32 vcc, s17, v12
	s_mov_b64 s[8:9], 0
	s_and_saveexec_b64 s[0:1], vcc
	s_cbranch_execz .LBB3_29
; %bb.28:
	s_movk_i32 s8, 0x8000
	v_cmp_ne_u16_e32 vcc, s8, v5
	v_cndmask_b32_e32 v4, 0, v5, vcc
	v_cmp_ne_u16_e32 vcc, s8, v8
	v_cndmask_b32_e32 v11, 0, v8, vcc
	v_mov_b32_e32 v13, 0xffff8000
	v_cmp_lt_i16_e32 vcc, -1, v4
	v_cndmask_b32_e32 v14, -1, v13, vcc
	v_cmp_lt_i16_e32 vcc, -1, v11
	v_cndmask_b32_e32 v13, -1, v13, vcc
	v_xor_b32_e32 v4, v14, v4
	v_xor_b32_e32 v11, v13, v11
	v_cmp_le_u16_e32 vcc, v4, v11
	s_and_b64 s[8:9], vcc, exec
.LBB3_29:
	s_or_b64 exec, exec, s[0:1]
	s_orn2_b64 s[0:1], s[8:9], exec
.LBB3_30:
	s_or_b64 exec, exec, s[6:7]
	v_mov_b32_e32 v4, s17
	v_cndmask_b32_e64 v13, v9, v12, s[0:1]
	v_cndmask_b32_e64 v4, v10, v4, s[0:1]
	v_add_u32_e32 v14, 1, v13
	v_add_u32_e32 v4, -1, v4
	v_min_u32_e32 v4, v14, v4
	v_lshlrev_b32_e32 v4, 1, v4
	ds_read_u16 v15, v4
	v_cndmask_b32_e64 v11, v14, v9, s[0:1]
	v_cndmask_b32_e64 v12, v12, v14, s[0:1]
	v_cmp_lt_u32_e32 vcc, v11, v10
	s_mov_b64 s[6:7], -1
	s_waitcnt lgkmcnt(0)
	v_cndmask_b32_e64 v4, v15, v5, s[0:1]
	v_cndmask_b32_e64 v9, v8, v15, s[0:1]
	s_mov_b64 s[8:9], -1
	s_and_saveexec_b64 s[26:27], vcc
	s_cbranch_execz .LBB3_34
; %bb.31:
	v_cmp_gt_u32_e32 vcc, s17, v12
	s_mov_b64 s[28:29], 0
	s_and_saveexec_b64 s[8:9], vcc
	s_cbranch_execz .LBB3_33
; %bb.32:
	s_movk_i32 s28, 0x8000
	v_cmp_ne_u16_e32 vcc, s28, v4
	v_cndmask_b32_e32 v14, 0, v4, vcc
	v_cmp_ne_u16_e32 vcc, s28, v9
	v_cndmask_b32_e32 v15, 0, v9, vcc
	v_mov_b32_e32 v16, 0xffff8000
	v_cmp_lt_i16_e32 vcc, -1, v14
	v_cndmask_b32_e32 v17, -1, v16, vcc
	v_cmp_lt_i16_e32 vcc, -1, v15
	v_cndmask_b32_e32 v16, -1, v16, vcc
	v_xor_b32_e32 v14, v17, v14
	v_xor_b32_e32 v15, v16, v15
	v_cmp_le_u16_e32 vcc, v14, v15
	s_and_b64 s[28:29], vcc, exec
.LBB3_33:
	s_or_b64 exec, exec, s[8:9]
	s_orn2_b64 s[8:9], s[28:29], exec
.LBB3_34:
	s_or_b64 exec, exec, s[26:27]
	v_mov_b32_e32 v14, s17
	v_cndmask_b32_e64 v15, v11, v12, s[8:9]
	v_cndmask_b32_e64 v14, v10, v14, s[8:9]
	v_add_u32_e32 v18, 1, v15
	v_add_u32_e32 v14, -1, v14
	v_min_u32_e32 v14, v18, v14
	v_lshlrev_b32_e32 v14, 1, v14
	ds_read_u16 v17, v14
	v_cndmask_b32_e64 v14, v18, v11, s[8:9]
	v_cndmask_b32_e64 v12, v12, v18, s[8:9]
	v_cmp_lt_u32_e32 vcc, v14, v10
	s_waitcnt lgkmcnt(0)
	v_cndmask_b32_e64 v16, v17, v4, s[8:9]
	v_cndmask_b32_e64 v17, v9, v17, s[8:9]
	s_and_saveexec_b64 s[26:27], vcc
	s_cbranch_execz .LBB3_38
; %bb.35:
	v_cmp_gt_u32_e32 vcc, s17, v12
	s_mov_b64 s[28:29], 0
	s_and_saveexec_b64 s[6:7], vcc
	s_cbranch_execz .LBB3_37
; %bb.36:
	s_movk_i32 s28, 0x8000
	v_cmp_ne_u16_e32 vcc, s28, v16
	v_cndmask_b32_e32 v11, 0, v16, vcc
	v_cmp_ne_u16_e32 vcc, s28, v17
	v_cndmask_b32_e32 v18, 0, v17, vcc
	v_mov_b32_e32 v19, 0xffff8000
	v_cmp_lt_i16_e32 vcc, -1, v11
	v_cndmask_b32_e32 v20, -1, v19, vcc
	v_cmp_lt_i16_e32 vcc, -1, v18
	v_cndmask_b32_e32 v19, -1, v19, vcc
	v_xor_b32_e32 v11, v20, v11
	v_xor_b32_e32 v18, v19, v18
	v_cmp_le_u16_e32 vcc, v11, v18
	s_and_b64 s[28:29], vcc, exec
.LBB3_37:
	s_or_b64 exec, exec, s[6:7]
	s_orn2_b64 s[6:7], s[28:29], exec
.LBB3_38:
	s_or_b64 exec, exec, s[26:27]
	v_cndmask_b32_e64 v11, v4, v9, s[8:9]
	v_cndmask_b32_e64 v9, v5, v8, s[0:1]
	;; [unrolled: 1-line block ×5, first 2 shown]
.LBB3_39:
	s_or_b64 exec, exec, s[2:3]
	s_lshl_b64 s[0:1], s[22:23], 3
	s_add_u32 s26, s12, s0
	s_addc_u32 s27, s13, s1
	s_lshl_b64 s[0:1], s[24:25], 3
	s_add_u32 s28, s12, s0
	v_cndmask_b32_e64 v2, 0, 1, s[20:21]
	s_addc_u32 s29, s13, s1
	v_cmp_gt_u32_e64 s[4:5], s17, v0
	v_cmp_ne_u32_e64 s[0:1], 1, v2
	s_andn2_b64 vcc, exec, s[20:21]
	v_cmp_le_u32_e64 s[2:3], s17, v0
	s_barrier
	s_cbranch_vccnz .LBB3_41
; %bb.40:
	v_subrev_u32_e32 v2, s17, v0
	v_mov_b32_e32 v3, 0
	v_lshlrev_b64 v[4:5], 3, v[2:3]
	v_mov_b32_e32 v2, s29
	v_add_co_u32_e32 v4, vcc, s28, v4
	v_addc_co_u32_e32 v2, vcc, v2, v5, vcc
	v_lshlrev_b32_e32 v22, 3, v0
	v_mov_b32_e32 v5, s27
	v_add_co_u32_e32 v23, vcc, s26, v22
	v_addc_co_u32_e32 v24, vcc, 0, v5, vcc
	v_cndmask_b32_e64 v5, v2, v24, s[4:5]
	v_cndmask_b32_e64 v4, v4, v23, s[4:5]
	v_or_b32_e32 v18, 0x100, v0
	s_movk_i32 s4, 0x800
	v_add_co_u32_e32 v19, vcc, s4, v23
	v_subrev_u32_e32 v2, s17, v18
	v_addc_co_u32_e32 v20, vcc, 0, v24, vcc
	v_lshlrev_b64 v[16:17], 3, v[2:3]
	v_mov_b32_e32 v2, s29
	v_add_co_u32_e32 v16, vcc, s28, v16
	v_addc_co_u32_e32 v2, vcc, v2, v17, vcc
	v_cmp_gt_u32_e32 vcc, s17, v18
	v_cndmask_b32_e32 v17, v2, v20, vcc
	v_or_b32_e32 v20, 0x200, v0
	s_movk_i32 s4, 0x1000
	v_cndmask_b32_e32 v16, v16, v19, vcc
	v_add_co_u32_e32 v21, vcc, s4, v23
	v_subrev_u32_e32 v2, s17, v20
	global_load_dwordx2 v[18:19], v[16:17], off
	v_addc_co_u32_e32 v25, vcc, 0, v24, vcc
	v_lshlrev_b64 v[16:17], 3, v[2:3]
	v_mov_b32_e32 v2, s29
	v_add_co_u32_e32 v16, vcc, s28, v16
	v_addc_co_u32_e32 v2, vcc, v2, v17, vcc
	v_cmp_gt_u32_e32 vcc, s17, v20
	global_load_dwordx2 v[4:5], v[4:5], off
	v_cndmask_b32_e32 v17, v2, v25, vcc
	v_cndmask_b32_e32 v16, v16, v21, vcc
	global_load_dwordx2 v[20:21], v[16:17], off
	v_or_b32_e32 v17, 0x300, v0
	s_movk_i32 s4, 0x1800
	v_add_co_u32_e32 v23, vcc, s4, v23
	v_subrev_u32_e32 v2, s17, v17
	v_addc_co_u32_e32 v24, vcc, 0, v24, vcc
	v_lshlrev_b64 v[2:3], 3, v[2:3]
	v_mov_b32_e32 v25, s29
	v_add_co_u32_e32 v2, vcc, s28, v2
	v_addc_co_u32_e32 v3, vcc, v25, v3, vcc
	v_cmp_gt_u32_e32 vcc, s17, v17
	v_or_b32_e32 v16, 0x1800, v22
	v_cndmask_b32_e32 v3, v3, v24, vcc
	v_cndmask_b32_e32 v2, v2, v23, vcc
	s_mov_b64 s[4:5], -1
	s_waitcnt vmcnt(1)
	ds_write2st64_b64 v22, v[4:5], v[18:19] offset1:4
	s_waitcnt vmcnt(0)
	ds_write_b64 v22, v[20:21] offset:4096
	s_cbranch_execz .LBB3_42
	s_branch .LBB3_63
.LBB3_41:
	s_mov_b64 s[4:5], 0
                                        ; implicit-def: $vgpr16
                                        ; implicit-def: $vgpr2_vgpr3
.LBB3_42:
	s_mov_b64 s[6:7], 0
                                        ; implicit-def: $vgpr2_vgpr3
	s_and_saveexec_b64 s[8:9], s[2:3]
	s_xor_b64 s[2:3], exec, s[8:9]
	s_cbranch_execz .LBB3_67
; %bb.43:
	v_subrev_u32_e32 v4, s17, v0
	v_cmp_gt_u32_e32 vcc, s19, v4
                                        ; implicit-def: $vgpr2_vgpr3
	s_and_saveexec_b64 s[8:9], vcc
	s_xor_b64 s[8:9], exec, s[8:9]
; %bb.44:
	v_mov_b32_e32 v5, 0
	v_lshlrev_b64 v[2:3], 3, v[4:5]
	v_mov_b32_e32 v4, s29
	v_add_co_u32_e32 v2, vcc, s28, v2
	s_mov_b64 s[6:7], exec
	v_addc_co_u32_e32 v3, vcc, v4, v3, vcc
; %bb.45:
	s_or_b64 exec, exec, s[8:9]
	s_and_b64 s[6:7], s[6:7], exec
	s_andn2_saveexec_b64 s[2:3], s[2:3]
	s_cbranch_execnz .LBB3_68
.LBB3_46:
	s_or_b64 exec, exec, s[2:3]
	v_mad_u32_u24 v16, v0, 6, v1
	s_and_saveexec_b64 s[2:3], s[6:7]
	s_cbranch_execz .LBB3_48
.LBB3_47:
	global_load_dwordx2 v[2:3], v[2:3], off
	s_waitcnt vmcnt(0)
	ds_write_b64 v16, v[2:3]
.LBB3_48:
	s_or_b64 exec, exec, s[2:3]
	v_or_b32_e32 v2, 0x100, v0
	v_cmp_le_u32_e32 vcc, s17, v2
	s_mov_b64 s[6:7], -1
	v_pk_mov_b32 v[4:5], s[22:23], s[22:23] op_sel:[0,1]
	s_and_saveexec_b64 s[2:3], vcc
; %bb.49:
	v_subrev_u32_e32 v2, s17, v2
	v_cmp_gt_u32_e32 vcc, s19, v2
	v_pk_mov_b32 v[4:5], s[24:25], s[24:25] op_sel:[0,1]
	s_orn2_b64 s[6:7], vcc, exec
; %bb.50:
	s_or_b64 exec, exec, s[2:3]
	s_and_saveexec_b64 s[2:3], s[6:7]
	s_cbranch_execz .LBB3_52
; %bb.51:
	v_lshlrev_b64 v[4:5], 3, v[4:5]
	v_mov_b32_e32 v3, s13
	v_add_co_u32_e32 v4, vcc, s12, v4
	v_addc_co_u32_e32 v5, vcc, v3, v5, vcc
	v_mov_b32_e32 v3, 0
	v_lshlrev_b64 v[2:3], 3, v[2:3]
	v_add_co_u32_e32 v2, vcc, v4, v2
	v_addc_co_u32_e32 v3, vcc, v5, v3, vcc
	global_load_dwordx2 v[2:3], v[2:3], off
	s_waitcnt vmcnt(0)
	ds_write_b64 v16, v[2:3] offset:2048
.LBB3_52:
	s_or_b64 exec, exec, s[2:3]
	v_or_b32_e32 v2, 0x200, v0
	v_cmp_le_u32_e32 vcc, s17, v2
	s_mov_b64 s[6:7], -1
	v_pk_mov_b32 v[4:5], s[22:23], s[22:23] op_sel:[0,1]
	s_and_saveexec_b64 s[2:3], vcc
; %bb.53:
	v_subrev_u32_e32 v2, s17, v2
	v_cmp_gt_u32_e32 vcc, s19, v2
	v_pk_mov_b32 v[4:5], s[24:25], s[24:25] op_sel:[0,1]
	s_orn2_b64 s[6:7], vcc, exec
; %bb.54:
	s_or_b64 exec, exec, s[2:3]
	s_and_saveexec_b64 s[2:3], s[6:7]
	s_cbranch_execz .LBB3_56
; %bb.55:
	v_lshlrev_b64 v[4:5], 3, v[4:5]
	v_mov_b32_e32 v3, s13
	v_add_co_u32_e32 v4, vcc, s12, v4
	v_addc_co_u32_e32 v5, vcc, v3, v5, vcc
	v_mov_b32_e32 v3, 0
	v_lshlrev_b64 v[2:3], 3, v[2:3]
	v_add_co_u32_e32 v2, vcc, v4, v2
	v_addc_co_u32_e32 v3, vcc, v5, v3, vcc
	global_load_dwordx2 v[2:3], v[2:3], off
	s_waitcnt vmcnt(0)
	ds_write_b64 v16, v[2:3] offset:4096
.LBB3_56:
	s_or_b64 exec, exec, s[2:3]
	v_or_b32_e32 v4, 0x300, v0
	v_cmp_le_u32_e32 vcc, s17, v4
                                        ; implicit-def: $vgpr16
                                        ; implicit-def: $vgpr2_vgpr3
	s_and_saveexec_b64 s[2:3], vcc
	s_xor_b64 s[2:3], exec, s[2:3]
	s_cbranch_execz .LBB3_60
; %bb.57:
	v_subrev_u32_e32 v4, s17, v4
	v_cmp_gt_u32_e32 vcc, s19, v4
	s_mov_b64 s[8:9], s[4:5]
                                        ; implicit-def: $vgpr16
                                        ; implicit-def: $vgpr2_vgpr3
	s_and_saveexec_b64 s[6:7], vcc
; %bb.58:
	v_mul_u32_u24_e32 v2, 6, v0
	s_movk_i32 s8, 0x1800
	v_mov_b32_e32 v5, 0
	v_add3_u32 v16, v1, v2, s8
	v_lshlrev_b64 v[2:3], 3, v[4:5]
	v_mov_b32_e32 v4, s29
	v_add_co_u32_e32 v2, vcc, s28, v2
	v_addc_co_u32_e32 v3, vcc, v4, v3, vcc
	s_or_b64 s[8:9], s[4:5], exec
; %bb.59:
	s_or_b64 exec, exec, s[6:7]
	s_andn2_b64 s[4:5], s[4:5], exec
	s_and_b64 s[6:7], s[8:9], exec
	s_or_b64 s[4:5], s[4:5], s[6:7]
                                        ; implicit-def: $vgpr4
.LBB3_60:
	s_andn2_saveexec_b64 s[2:3], s[2:3]
; %bb.61:
	v_lshlrev_b32_e32 v2, 3, v4
	v_mov_b32_e32 v3, s27
	v_add_co_u32_e32 v2, vcc, s26, v2
	v_mul_u32_u24_e32 v4, 6, v0
	s_movk_i32 s6, 0x1800
	v_addc_co_u32_e32 v3, vcc, 0, v3, vcc
	v_add3_u32 v16, v1, v4, s6
	s_or_b64 s[4:5], s[4:5], exec
; %bb.62:
	s_or_b64 exec, exec, s[2:3]
.LBB3_63:
	s_and_saveexec_b64 s[2:3], s[4:5]
	s_cbranch_execz .LBB3_65
; %bb.64:
	global_load_dwordx2 v[2:3], v[2:3], off
	s_waitcnt vmcnt(0)
	ds_write_b64 v16, v[2:3]
.LBB3_65:
	s_or_b64 exec, exec, s[2:3]
	s_and_b64 vcc, exec, s[0:1]
	v_add_u32_e32 v2, s18, v6
	s_waitcnt lgkmcnt(0)
	s_barrier
	s_cbranch_vccnz .LBB3_69
; %bb.66:
	v_lshlrev_b32_e32 v16, 3, v7
	v_lshlrev_b32_e32 v18, 3, v13
	;; [unrolled: 1-line block ×3, first 2 shown]
	ds_read_b64 v[16:17], v16
	ds_read_b64 v[18:19], v18
	;; [unrolled: 1-line block ×3, first 2 shown]
	v_mov_b32_e32 v3, 0
	v_lshlrev_b64 v[4:5], 3, v[2:3]
	v_mov_b32_e32 v22, s15
	v_add_co_u32_e32 v4, vcc, s14, v4
	v_addc_co_u32_e32 v5, vcc, v22, v5, vcc
	s_mov_b64 s[0:1], -1
	s_waitcnt lgkmcnt(1)
	global_store_dwordx4 v[4:5], v[16:19], off
	s_waitcnt lgkmcnt(0)
	global_store_dwordx2 v[4:5], v[20:21], off offset:16
	s_cbranch_execz .LBB3_70
	s_branch .LBB3_79
.LBB3_67:
	s_andn2_saveexec_b64 s[2:3], s[2:3]
	s_cbranch_execz .LBB3_46
.LBB3_68:
	v_lshlrev_b32_e32 v2, 3, v0
	v_mov_b32_e32 v3, s27
	v_add_co_u32_e32 v2, vcc, s26, v2
	v_addc_co_u32_e32 v3, vcc, 0, v3, vcc
	s_or_b64 s[6:7], s[6:7], exec
	s_or_b64 exec, exec, s[2:3]
	v_mad_u32_u24 v16, v0, 6, v1
	s_and_saveexec_b64 s[2:3], s[6:7]
	s_cbranch_execnz .LBB3_47
	s_branch .LBB3_48
.LBB3_69:
	s_mov_b64 s[0:1], 0
.LBB3_70:
	v_cmp_lt_u32_e32 vcc, v6, v10
	s_and_saveexec_b64 s[2:3], vcc
	s_cbranch_execz .LBB3_72
; %bb.71:
	v_lshlrev_b32_e32 v7, 3, v7
	ds_read_b64 v[16:17], v7
	v_mov_b32_e32 v3, 0
	v_lshlrev_b64 v[4:5], 3, v[2:3]
	v_mov_b32_e32 v3, s15
	v_add_co_u32_e32 v4, vcc, s14, v4
	v_addc_co_u32_e32 v5, vcc, v3, v5, vcc
	s_waitcnt lgkmcnt(0)
	global_store_dwordx2 v[4:5], v[16:17], off
.LBB3_72:
	s_or_b64 exec, exec, s[2:3]
	v_or_b32_e32 v3, 1, v6
	v_cmp_lt_u32_e32 vcc, v3, v10
	s_and_saveexec_b64 s[2:3], vcc
	s_cbranch_execz .LBB3_74
; %bb.73:
	v_lshlrev_b32_e32 v7, 3, v13
	ds_read_b64 v[16:17], v7
	v_mov_b32_e32 v3, 0
	v_lshlrev_b64 v[4:5], 3, v[2:3]
	v_mov_b32_e32 v3, s15
	v_add_co_u32_e32 v4, vcc, s14, v4
	v_addc_co_u32_e32 v5, vcc, v3, v5, vcc
	s_waitcnt lgkmcnt(0)
	global_store_dwordx2 v[4:5], v[16:17], off offset:8
.LBB3_74:
	s_or_b64 exec, exec, s[2:3]
	v_or_b32_e32 v3, 2, v6
	v_cmp_lt_u32_e32 vcc, v3, v10
	s_and_saveexec_b64 s[2:3], vcc
	s_cbranch_execz .LBB3_76
; %bb.75:
	v_lshlrev_b32_e32 v7, 3, v15
	ds_read_b64 v[16:17], v7
	v_mov_b32_e32 v3, 0
	v_lshlrev_b64 v[4:5], 3, v[2:3]
	v_mov_b32_e32 v3, s15
	v_add_co_u32_e32 v4, vcc, s14, v4
	v_addc_co_u32_e32 v5, vcc, v3, v5, vcc
	s_waitcnt lgkmcnt(0)
	global_store_dwordx2 v[4:5], v[16:17], off offset:16
.LBB3_76:
	s_or_b64 exec, exec, s[2:3]
	v_or_b32_e32 v3, 3, v6
	v_cmp_lt_u32_e32 vcc, v3, v10
	s_and_saveexec_b64 s[2:3], vcc
; %bb.77:
	v_mov_b32_e32 v3, 0
	s_or_b64 s[0:1], s[0:1], exec
; %bb.78:
	s_or_b64 exec, exec, s[2:3]
.LBB3_79:
	s_and_saveexec_b64 s[2:3], s[0:1]
	s_cbranch_execz .LBB3_81
; %bb.80:
	v_lshlrev_b32_e32 v4, 3, v14
	ds_read_b64 v[4:5], v4
	v_lshlrev_b64 v[2:3], 3, v[2:3]
	v_mov_b32_e32 v7, s15
	v_add_co_u32_e32 v2, vcc, s14, v2
	v_addc_co_u32_e32 v3, vcc, v7, v3, vcc
	s_waitcnt lgkmcnt(0)
	global_store_dwordx2 v[2:3], v[4:5], off offset:24
.LBB3_81:
	s_or_b64 exec, exec, s[2:3]
	v_lshrrev_b32_e32 v2, 3, v0
	v_and_b32_e32 v2, 30, v2
	s_mov_b32 s2, 0x5040100
	v_add_lshl_u32 v2, v2, v6, 1
	v_perm_b32 v3, v12, v11, s2
	v_perm_b32 v4, v9, v8, s2
	s_barrier
	s_barrier
	ds_write2_b32 v2, v4, v3 offset1:1
	v_lshrrev_b32_e32 v2, 4, v0
	v_and_b32_e32 v2, 12, v2
	v_or_b32_e32 v6, 0x100, v0
	v_add_u32_e32 v7, v1, v2
	v_lshrrev_b32_e32 v2, 4, v6
	v_and_b32_e32 v2, 28, v2
	v_or_b32_e32 v5, 0x200, v0
	s_mov_b32 s19, 0
	v_add_u32_e32 v8, v1, v2
	v_lshrrev_b32_e32 v2, 4, v5
	s_lshl_b64 s[0:1], s[18:19], 1
	v_and_b32_e32 v2, 44, v2
	v_or_b32_e32 v4, 0x300, v0
	s_add_u32 s0, s10, s0
	v_add_u32_e32 v9, v1, v2
	v_lshrrev_b32_e32 v2, 4, v4
	s_addc_u32 s1, s11, s1
	v_and_b32_e32 v2, 60, v2
	v_add_u32_e32 v10, v1, v2
	v_mov_b32_e32 v3, s1
	v_add_co_u32_e32 v2, vcc, s0, v1
	v_addc_co_u32_e32 v3, vcc, 0, v3, vcc
	s_and_b64 vcc, exec, s[20:21]
	s_waitcnt lgkmcnt(0)
	s_cbranch_vccz .LBB3_83
; %bb.82:
	s_barrier
	ds_read_u16 v11, v7
	ds_read_u16 v12, v8 offset:512
	ds_read_u16 v13, v9 offset:1024
	;; [unrolled: 1-line block ×3, first 2 shown]
	s_waitcnt lgkmcnt(3)
	global_store_short v[2:3], v11, off
	s_waitcnt lgkmcnt(2)
	global_store_short v[2:3], v12, off offset:512
	s_waitcnt lgkmcnt(1)
	global_store_short v[2:3], v13, off offset:1024
	s_mov_b64 s[0:1], -1
	s_cbranch_execz .LBB3_84
	s_branch .LBB3_89
.LBB3_83:
	s_mov_b64 s[0:1], 0
                                        ; implicit-def: $vgpr1
.LBB3_84:
	s_barrier
	s_waitcnt lgkmcnt(0)
	ds_read_u16 v11, v8 offset:512
	ds_read_u16 v8, v9 offset:1024
	;; [unrolled: 1-line block ×3, first 2 shown]
	s_sub_i32 s2, s16, s18
	v_cmp_gt_u32_e32 vcc, s2, v0
	s_and_saveexec_b64 s[0:1], vcc
	s_cbranch_execz .LBB3_92
; %bb.85:
	ds_read_u16 v0, v7
	s_waitcnt lgkmcnt(0)
	global_store_short v[2:3], v0, off
	s_or_b64 exec, exec, s[0:1]
	v_cmp_gt_u32_e32 vcc, s2, v6
	s_and_saveexec_b64 s[0:1], vcc
	s_cbranch_execnz .LBB3_93
.LBB3_86:
	s_or_b64 exec, exec, s[0:1]
	v_cmp_gt_u32_e32 vcc, s2, v5
	s_and_saveexec_b64 s[0:1], vcc
	s_cbranch_execz .LBB3_88
.LBB3_87:
	s_waitcnt lgkmcnt(1)
	global_store_short v[2:3], v8, off offset:1024
.LBB3_88:
	s_or_b64 exec, exec, s[0:1]
	v_cmp_gt_u32_e64 s[0:1], s2, v4
.LBB3_89:
	s_and_saveexec_b64 s[2:3], s[0:1]
	s_cbranch_execz .LBB3_91
; %bb.90:
	s_waitcnt lgkmcnt(0)
	global_store_short v[2:3], v1, off offset:1536
.LBB3_91:
	s_endpgm
.LBB3_92:
	s_or_b64 exec, exec, s[0:1]
	v_cmp_gt_u32_e32 vcc, s2, v6
	s_and_saveexec_b64 s[0:1], vcc
	s_cbranch_execz .LBB3_86
.LBB3_93:
	s_waitcnt lgkmcnt(2)
	global_store_short v[2:3], v11, off offset:512
	s_or_b64 exec, exec, s[0:1]
	v_cmp_gt_u32_e32 vcc, s2, v5
	s_and_saveexec_b64 s[0:1], vcc
	s_cbranch_execnz .LBB3_87
	s_branch .LBB3_88
	.section	.rodata,"a",@progbits
	.p2align	6, 0x0
	.amdhsa_kernel _ZN7rocprim17ROCPRIM_304000_NS6detail35device_block_merge_mergepath_kernelINS1_37wrapped_merge_sort_block_merge_configINS0_14default_configE12hip_bfloat16N2at4cuda3cub6detail10OpaqueTypeILi8EEEEEPS5_SD_PSB_SE_jNS1_19radix_merge_compareILb1ELb0ES5_NS0_19identity_decomposerEEEEEvT0_T1_T2_T3_T4_SM_jT5_PKSM_NS1_7vsmem_tE
		.amdhsa_group_segment_fixed_size 8208
		.amdhsa_private_segment_fixed_size 0
		.amdhsa_kernarg_size 320
		.amdhsa_user_sgpr_count 6
		.amdhsa_user_sgpr_private_segment_buffer 1
		.amdhsa_user_sgpr_dispatch_ptr 0
		.amdhsa_user_sgpr_queue_ptr 0
		.amdhsa_user_sgpr_kernarg_segment_ptr 1
		.amdhsa_user_sgpr_dispatch_id 0
		.amdhsa_user_sgpr_flat_scratch_init 0
		.amdhsa_user_sgpr_kernarg_preload_length 0
		.amdhsa_user_sgpr_kernarg_preload_offset 0
		.amdhsa_user_sgpr_private_segment_size 0
		.amdhsa_uses_dynamic_stack 0
		.amdhsa_system_sgpr_private_segment_wavefront_offset 0
		.amdhsa_system_sgpr_workgroup_id_x 1
		.amdhsa_system_sgpr_workgroup_id_y 1
		.amdhsa_system_sgpr_workgroup_id_z 1
		.amdhsa_system_sgpr_workgroup_info 0
		.amdhsa_system_vgpr_workitem_id 0
		.amdhsa_next_free_vgpr 26
		.amdhsa_next_free_sgpr 30
		.amdhsa_accum_offset 28
		.amdhsa_reserve_vcc 1
		.amdhsa_reserve_flat_scratch 0
		.amdhsa_float_round_mode_32 0
		.amdhsa_float_round_mode_16_64 0
		.amdhsa_float_denorm_mode_32 3
		.amdhsa_float_denorm_mode_16_64 3
		.amdhsa_dx10_clamp 1
		.amdhsa_ieee_mode 1
		.amdhsa_fp16_overflow 0
		.amdhsa_tg_split 0
		.amdhsa_exception_fp_ieee_invalid_op 0
		.amdhsa_exception_fp_denorm_src 0
		.amdhsa_exception_fp_ieee_div_zero 0
		.amdhsa_exception_fp_ieee_overflow 0
		.amdhsa_exception_fp_ieee_underflow 0
		.amdhsa_exception_fp_ieee_inexact 0
		.amdhsa_exception_int_div_zero 0
	.end_amdhsa_kernel
	.section	.text._ZN7rocprim17ROCPRIM_304000_NS6detail35device_block_merge_mergepath_kernelINS1_37wrapped_merge_sort_block_merge_configINS0_14default_configE12hip_bfloat16N2at4cuda3cub6detail10OpaqueTypeILi8EEEEEPS5_SD_PSB_SE_jNS1_19radix_merge_compareILb1ELb0ES5_NS0_19identity_decomposerEEEEEvT0_T1_T2_T3_T4_SM_jT5_PKSM_NS1_7vsmem_tE,"axG",@progbits,_ZN7rocprim17ROCPRIM_304000_NS6detail35device_block_merge_mergepath_kernelINS1_37wrapped_merge_sort_block_merge_configINS0_14default_configE12hip_bfloat16N2at4cuda3cub6detail10OpaqueTypeILi8EEEEEPS5_SD_PSB_SE_jNS1_19radix_merge_compareILb1ELb0ES5_NS0_19identity_decomposerEEEEEvT0_T1_T2_T3_T4_SM_jT5_PKSM_NS1_7vsmem_tE,comdat
.Lfunc_end3:
	.size	_ZN7rocprim17ROCPRIM_304000_NS6detail35device_block_merge_mergepath_kernelINS1_37wrapped_merge_sort_block_merge_configINS0_14default_configE12hip_bfloat16N2at4cuda3cub6detail10OpaqueTypeILi8EEEEEPS5_SD_PSB_SE_jNS1_19radix_merge_compareILb1ELb0ES5_NS0_19identity_decomposerEEEEEvT0_T1_T2_T3_T4_SM_jT5_PKSM_NS1_7vsmem_tE, .Lfunc_end3-_ZN7rocprim17ROCPRIM_304000_NS6detail35device_block_merge_mergepath_kernelINS1_37wrapped_merge_sort_block_merge_configINS0_14default_configE12hip_bfloat16N2at4cuda3cub6detail10OpaqueTypeILi8EEEEEPS5_SD_PSB_SE_jNS1_19radix_merge_compareILb1ELb0ES5_NS0_19identity_decomposerEEEEEvT0_T1_T2_T3_T4_SM_jT5_PKSM_NS1_7vsmem_tE
                                        ; -- End function
	.section	.AMDGPU.csdata,"",@progbits
; Kernel info:
; codeLenInByte = 3860
; NumSgprs: 34
; NumVgprs: 26
; NumAgprs: 0
; TotalNumVgprs: 26
; ScratchSize: 0
; MemoryBound: 1
; FloatMode: 240
; IeeeMode: 1
; LDSByteSize: 8208 bytes/workgroup (compile time only)
; SGPRBlocks: 4
; VGPRBlocks: 3
; NumSGPRsForWavesPerEU: 34
; NumVGPRsForWavesPerEU: 26
; AccumOffset: 28
; Occupancy: 7
; WaveLimiterHint : 1
; COMPUTE_PGM_RSRC2:SCRATCH_EN: 0
; COMPUTE_PGM_RSRC2:USER_SGPR: 6
; COMPUTE_PGM_RSRC2:TRAP_HANDLER: 0
; COMPUTE_PGM_RSRC2:TGID_X_EN: 1
; COMPUTE_PGM_RSRC2:TGID_Y_EN: 1
; COMPUTE_PGM_RSRC2:TGID_Z_EN: 1
; COMPUTE_PGM_RSRC2:TIDIG_COMP_CNT: 0
; COMPUTE_PGM_RSRC3_GFX90A:ACCUM_OFFSET: 6
; COMPUTE_PGM_RSRC3_GFX90A:TG_SPLIT: 0
	.section	.text._ZN7rocprim17ROCPRIM_304000_NS6detail33device_block_merge_oddeven_kernelINS1_37wrapped_merge_sort_block_merge_configINS0_14default_configE12hip_bfloat16N2at4cuda3cub6detail10OpaqueTypeILi8EEEEEPS5_SD_PSB_SE_jNS1_19radix_merge_compareILb1ELb0ES5_NS0_19identity_decomposerEEEEEvT0_T1_T2_T3_T4_SM_T5_,"axG",@progbits,_ZN7rocprim17ROCPRIM_304000_NS6detail33device_block_merge_oddeven_kernelINS1_37wrapped_merge_sort_block_merge_configINS0_14default_configE12hip_bfloat16N2at4cuda3cub6detail10OpaqueTypeILi8EEEEEPS5_SD_PSB_SE_jNS1_19radix_merge_compareILb1ELb0ES5_NS0_19identity_decomposerEEEEEvT0_T1_T2_T3_T4_SM_T5_,comdat
	.protected	_ZN7rocprim17ROCPRIM_304000_NS6detail33device_block_merge_oddeven_kernelINS1_37wrapped_merge_sort_block_merge_configINS0_14default_configE12hip_bfloat16N2at4cuda3cub6detail10OpaqueTypeILi8EEEEEPS5_SD_PSB_SE_jNS1_19radix_merge_compareILb1ELb0ES5_NS0_19identity_decomposerEEEEEvT0_T1_T2_T3_T4_SM_T5_ ; -- Begin function _ZN7rocprim17ROCPRIM_304000_NS6detail33device_block_merge_oddeven_kernelINS1_37wrapped_merge_sort_block_merge_configINS0_14default_configE12hip_bfloat16N2at4cuda3cub6detail10OpaqueTypeILi8EEEEEPS5_SD_PSB_SE_jNS1_19radix_merge_compareILb1ELb0ES5_NS0_19identity_decomposerEEEEEvT0_T1_T2_T3_T4_SM_T5_
	.globl	_ZN7rocprim17ROCPRIM_304000_NS6detail33device_block_merge_oddeven_kernelINS1_37wrapped_merge_sort_block_merge_configINS0_14default_configE12hip_bfloat16N2at4cuda3cub6detail10OpaqueTypeILi8EEEEEPS5_SD_PSB_SE_jNS1_19radix_merge_compareILb1ELb0ES5_NS0_19identity_decomposerEEEEEvT0_T1_T2_T3_T4_SM_T5_
	.p2align	8
	.type	_ZN7rocprim17ROCPRIM_304000_NS6detail33device_block_merge_oddeven_kernelINS1_37wrapped_merge_sort_block_merge_configINS0_14default_configE12hip_bfloat16N2at4cuda3cub6detail10OpaqueTypeILi8EEEEEPS5_SD_PSB_SE_jNS1_19radix_merge_compareILb1ELb0ES5_NS0_19identity_decomposerEEEEEvT0_T1_T2_T3_T4_SM_T5_,@function
_ZN7rocprim17ROCPRIM_304000_NS6detail33device_block_merge_oddeven_kernelINS1_37wrapped_merge_sort_block_merge_configINS0_14default_configE12hip_bfloat16N2at4cuda3cub6detail10OpaqueTypeILi8EEEEEPS5_SD_PSB_SE_jNS1_19radix_merge_compareILb1ELb0ES5_NS0_19identity_decomposerEEEEEvT0_T1_T2_T3_T4_SM_T5_: ; @_ZN7rocprim17ROCPRIM_304000_NS6detail33device_block_merge_oddeven_kernelINS1_37wrapped_merge_sort_block_merge_configINS0_14default_configE12hip_bfloat16N2at4cuda3cub6detail10OpaqueTypeILi8EEEEEPS5_SD_PSB_SE_jNS1_19radix_merge_compareILb1ELb0ES5_NS0_19identity_decomposerEEEEEvT0_T1_T2_T3_T4_SM_T5_
; %bb.0:
	s_load_dwordx2 s[16:17], s[4:5], 0x20
	s_waitcnt lgkmcnt(0)
	s_lshr_b32 s2, s16, 8
	s_cmp_lg_u32 s6, s2
	s_cselect_b64 s[0:1], -1, 0
	s_cmp_eq_u32 s6, s2
	s_cselect_b64 s[18:19], -1, 0
	s_lshl_b32 s20, s6, 8
	s_sub_i32 s2, s16, s20
	v_cmp_gt_u32_e64 s[2:3], s2, v0
	s_or_b64 s[0:1], s[0:1], s[2:3]
	s_and_saveexec_b64 s[8:9], s[0:1]
	s_cbranch_execz .LBB4_26
; %bb.1:
	s_load_dwordx8 s[8:15], s[4:5], 0x0
	s_mov_b32 s21, 0
	s_lshl_b64 s[0:1], s[20:21], 1
	v_lshlrev_b32_e32 v4, 3, v0
	v_lshlrev_b32_e32 v1, 1, v0
	s_waitcnt lgkmcnt(0)
	s_add_u32 s0, s8, s0
	s_addc_u32 s1, s9, s1
	s_lshl_b64 s[4:5], s[20:21], 3
	s_add_u32 s4, s12, s4
	s_addc_u32 s5, s13, s5
	global_load_dwordx2 v[2:3], v4, s[4:5]
	global_load_ushort v6, v1, s[0:1]
	s_lshr_b32 s0, s17, 8
	s_sub_i32 s1, 0, s0
	s_and_b32 s1, s6, s1
	s_and_b32 s0, s1, s0
	s_lshl_b32 s22, s1, 8
	s_sub_i32 s6, 0, s17
	s_cmp_eq_u32 s0, 0
	s_cselect_b64 s[0:1], -1, 0
	s_and_b64 s[4:5], s[0:1], exec
	s_cselect_b32 s21, s17, s6
	s_add_i32 s21, s21, s22
	s_cmp_lt_u32 s21, s16
	v_add_u32_e32 v4, s20, v0
	s_cbranch_scc1 .LBB4_6
; %bb.2:
	s_and_b64 vcc, exec, s[18:19]
	s_cbranch_vccz .LBB4_7
; %bb.3:
	v_cmp_gt_u32_e32 vcc, s16, v4
	s_mov_b64 s[6:7], 0
	s_mov_b64 s[4:5], 0
                                        ; implicit-def: $vgpr0_vgpr1
	s_and_saveexec_b64 s[12:13], vcc
	s_cbranch_execz .LBB4_5
; %bb.4:
	v_mov_b32_e32 v5, 0
	v_lshlrev_b64 v[0:1], 3, v[4:5]
	v_mov_b32_e32 v7, s15
	v_add_co_u32_e32 v0, vcc, s14, v0
	v_addc_co_u32_e32 v1, vcc, v7, v1, vcc
	v_lshlrev_b64 v[8:9], 1, v[4:5]
	v_mov_b32_e32 v5, s11
	v_add_co_u32_e32 v8, vcc, s10, v8
	s_mov_b64 s[4:5], exec
	v_addc_co_u32_e32 v9, vcc, v5, v9, vcc
	s_waitcnt vmcnt(0)
	global_store_short v[8:9], v6, off
.LBB4_5:
	s_or_b64 exec, exec, s[12:13]
	s_and_b64 vcc, exec, s[6:7]
	s_cbranch_vccnz .LBB4_8
	s_branch .LBB4_9
.LBB4_6:
	s_mov_b64 s[4:5], 0
                                        ; implicit-def: $vgpr0_vgpr1
	s_cbranch_execnz .LBB4_10
	s_branch .LBB4_24
.LBB4_7:
	s_mov_b64 s[4:5], 0
                                        ; implicit-def: $vgpr0_vgpr1
	s_cbranch_execz .LBB4_9
.LBB4_8:
	v_mov_b32_e32 v5, 0
	v_lshlrev_b64 v[0:1], 1, v[4:5]
	v_mov_b32_e32 v7, s11
	v_add_co_u32_e32 v0, vcc, s10, v0
	v_addc_co_u32_e32 v1, vcc, v7, v1, vcc
	s_waitcnt vmcnt(0)
	global_store_short v[0:1], v6, off
	v_lshlrev_b64 v[0:1], 3, v[4:5]
	v_mov_b32_e32 v5, s15
	v_add_co_u32_e32 v0, vcc, s14, v0
	v_addc_co_u32_e32 v1, vcc, v5, v1, vcc
	s_or_b64 s[4:5], s[4:5], exec
.LBB4_9:
	s_branch .LBB4_24
.LBB4_10:
	s_min_u32 s12, s21, s16
	s_add_i32 s6, s12, s17
	s_min_u32 s13, s6, s16
	s_min_u32 s6, s22, s12
	s_add_i32 s22, s22, s12
	v_subrev_u32_e32 v0, s22, v4
	v_add_u32_e32 v4, s6, v0
	s_and_b64 vcc, exec, s[18:19]
	s_cbranch_vccz .LBB4_18
; %bb.11:
                                        ; implicit-def: $vgpr0_vgpr1
	s_and_saveexec_b64 s[6:7], s[2:3]
	s_cbranch_execz .LBB4_17
; %bb.12:
	s_cmp_ge_u32 s21, s13
	v_mov_b32_e32 v0, s12
	s_cbranch_scc1 .LBB4_16
; %bb.13:
	s_movk_i32 s16, 0x8000
	s_waitcnt vmcnt(0)
	v_cmp_ne_u16_e32 vcc, s16, v6
	v_cndmask_b32_e32 v0, 0, v6, vcc
	v_mov_b32_e32 v1, 0xffff8000
	v_cmp_lt_i16_e32 vcc, -1, v0
	v_cndmask_b32_e32 v5, -1, v1, vcc
	v_xor_b32_e32 v5, v5, v0
	s_mov_b64 s[2:3], 0
	v_mov_b32_e32 v7, s13
	v_mov_b32_e32 v0, s12
.LBB4_14:                               ; =>This Inner Loop Header: Depth=1
	v_add_u32_e32 v8, v0, v7
	v_and_b32_e32 v9, -2, v8
	global_load_ushort v9, v9, s[8:9]
	v_lshrrev_b32_e32 v8, 1, v8
	v_add_u32_e32 v10, 1, v8
	s_waitcnt vmcnt(0)
	v_cmp_ne_u16_e32 vcc, s16, v9
	v_cndmask_b32_e32 v9, 0, v9, vcc
	v_cmp_lt_i16_e32 vcc, -1, v9
	v_cndmask_b32_e32 v11, -1, v1, vcc
	v_xor_b32_e32 v9, v11, v9
	v_cmp_gt_u16_e32 vcc, v9, v5
	v_cndmask_b32_e64 v11, 0, 1, vcc
	v_cmp_le_u16_e32 vcc, v5, v9
	v_cndmask_b32_e64 v9, 0, 1, vcc
	v_cndmask_b32_e64 v9, v9, v11, s[0:1]
	v_and_b32_e32 v9, 1, v9
	v_cmp_eq_u32_e32 vcc, 1, v9
	v_cndmask_b32_e32 v7, v8, v7, vcc
	v_cndmask_b32_e32 v0, v0, v10, vcc
	v_cmp_ge_u32_e32 vcc, v0, v7
	s_or_b64 s[2:3], vcc, s[2:3]
	s_andn2_b64 exec, exec, s[2:3]
	s_cbranch_execnz .LBB4_14
; %bb.15:
	s_or_b64 exec, exec, s[2:3]
.LBB4_16:
	v_add_u32_e32 v0, v0, v4
	v_mov_b32_e32 v1, 0
	v_lshlrev_b64 v[8:9], 1, v[0:1]
	v_mov_b32_e32 v5, s11
	v_add_co_u32_e32 v8, vcc, s10, v8
	v_addc_co_u32_e32 v9, vcc, v5, v9, vcc
	v_lshlrev_b64 v[0:1], 3, v[0:1]
	v_mov_b32_e32 v5, s15
	v_add_co_u32_e32 v0, vcc, s14, v0
	s_waitcnt vmcnt(0)
	global_store_short v[8:9], v6, off
	v_addc_co_u32_e32 v1, vcc, v5, v1, vcc
	s_or_b64 s[4:5], s[4:5], exec
.LBB4_17:
	s_or_b64 exec, exec, s[6:7]
	s_branch .LBB4_24
.LBB4_18:
                                        ; implicit-def: $vgpr0_vgpr1
	s_cbranch_execz .LBB4_24
; %bb.19:
	s_cmp_ge_u32 s21, s13
	v_mov_b32_e32 v0, s12
	s_cbranch_scc1 .LBB4_23
; %bb.20:
	s_movk_i32 s4, 0x8000
	s_waitcnt vmcnt(0)
	v_cmp_ne_u16_e32 vcc, s4, v6
	v_cndmask_b32_e32 v0, 0, v6, vcc
	v_mov_b32_e32 v1, 0xffff8000
	v_cmp_lt_i16_e32 vcc, -1, v0
	v_cndmask_b32_e32 v5, -1, v1, vcc
	v_xor_b32_e32 v5, v5, v0
	s_mov_b64 s[2:3], 0
	v_mov_b32_e32 v7, s13
	v_mov_b32_e32 v0, s12
.LBB4_21:                               ; =>This Inner Loop Header: Depth=1
	v_add_u32_e32 v8, v0, v7
	v_and_b32_e32 v9, -2, v8
	global_load_ushort v9, v9, s[8:9]
	v_lshrrev_b32_e32 v8, 1, v8
	v_add_u32_e32 v10, 1, v8
	s_waitcnt vmcnt(0)
	v_cmp_ne_u16_e32 vcc, s4, v9
	v_cndmask_b32_e32 v9, 0, v9, vcc
	v_cmp_lt_i16_e32 vcc, -1, v9
	v_cndmask_b32_e32 v11, -1, v1, vcc
	v_xor_b32_e32 v9, v11, v9
	v_cmp_gt_u16_e32 vcc, v9, v5
	v_cndmask_b32_e64 v11, 0, 1, vcc
	v_cmp_le_u16_e32 vcc, v5, v9
	v_cndmask_b32_e64 v9, 0, 1, vcc
	v_cndmask_b32_e64 v9, v9, v11, s[0:1]
	v_and_b32_e32 v9, 1, v9
	v_cmp_eq_u32_e32 vcc, 1, v9
	v_cndmask_b32_e32 v7, v8, v7, vcc
	v_cndmask_b32_e32 v0, v0, v10, vcc
	v_cmp_ge_u32_e32 vcc, v0, v7
	s_or_b64 s[2:3], vcc, s[2:3]
	s_andn2_b64 exec, exec, s[2:3]
	s_cbranch_execnz .LBB4_21
; %bb.22:
	s_or_b64 exec, exec, s[2:3]
.LBB4_23:
	v_add_u32_e32 v0, v0, v4
	v_mov_b32_e32 v1, 0
	v_lshlrev_b64 v[4:5], 1, v[0:1]
	v_mov_b32_e32 v7, s11
	v_add_co_u32_e32 v4, vcc, s10, v4
	v_addc_co_u32_e32 v5, vcc, v7, v5, vcc
	v_lshlrev_b64 v[0:1], 3, v[0:1]
	s_waitcnt vmcnt(0)
	global_store_short v[4:5], v6, off
	v_mov_b32_e32 v4, s15
	v_add_co_u32_e32 v0, vcc, s14, v0
	v_addc_co_u32_e32 v1, vcc, v4, v1, vcc
	s_mov_b64 s[4:5], -1
.LBB4_24:
	s_and_b64 exec, exec, s[4:5]
	s_cbranch_execz .LBB4_26
; %bb.25:
	s_waitcnt vmcnt(1)
	global_store_dwordx2 v[0:1], v[2:3], off
.LBB4_26:
	s_endpgm
	.section	.rodata,"a",@progbits
	.p2align	6, 0x0
	.amdhsa_kernel _ZN7rocprim17ROCPRIM_304000_NS6detail33device_block_merge_oddeven_kernelINS1_37wrapped_merge_sort_block_merge_configINS0_14default_configE12hip_bfloat16N2at4cuda3cub6detail10OpaqueTypeILi8EEEEEPS5_SD_PSB_SE_jNS1_19radix_merge_compareILb1ELb0ES5_NS0_19identity_decomposerEEEEEvT0_T1_T2_T3_T4_SM_T5_
		.amdhsa_group_segment_fixed_size 0
		.amdhsa_private_segment_fixed_size 0
		.amdhsa_kernarg_size 44
		.amdhsa_user_sgpr_count 6
		.amdhsa_user_sgpr_private_segment_buffer 1
		.amdhsa_user_sgpr_dispatch_ptr 0
		.amdhsa_user_sgpr_queue_ptr 0
		.amdhsa_user_sgpr_kernarg_segment_ptr 1
		.amdhsa_user_sgpr_dispatch_id 0
		.amdhsa_user_sgpr_flat_scratch_init 0
		.amdhsa_user_sgpr_kernarg_preload_length 0
		.amdhsa_user_sgpr_kernarg_preload_offset 0
		.amdhsa_user_sgpr_private_segment_size 0
		.amdhsa_uses_dynamic_stack 0
		.amdhsa_system_sgpr_private_segment_wavefront_offset 0
		.amdhsa_system_sgpr_workgroup_id_x 1
		.amdhsa_system_sgpr_workgroup_id_y 0
		.amdhsa_system_sgpr_workgroup_id_z 0
		.amdhsa_system_sgpr_workgroup_info 0
		.amdhsa_system_vgpr_workitem_id 0
		.amdhsa_next_free_vgpr 12
		.amdhsa_next_free_sgpr 23
		.amdhsa_accum_offset 12
		.amdhsa_reserve_vcc 1
		.amdhsa_reserve_flat_scratch 0
		.amdhsa_float_round_mode_32 0
		.amdhsa_float_round_mode_16_64 0
		.amdhsa_float_denorm_mode_32 3
		.amdhsa_float_denorm_mode_16_64 3
		.amdhsa_dx10_clamp 1
		.amdhsa_ieee_mode 1
		.amdhsa_fp16_overflow 0
		.amdhsa_tg_split 0
		.amdhsa_exception_fp_ieee_invalid_op 0
		.amdhsa_exception_fp_denorm_src 0
		.amdhsa_exception_fp_ieee_div_zero 0
		.amdhsa_exception_fp_ieee_overflow 0
		.amdhsa_exception_fp_ieee_underflow 0
		.amdhsa_exception_fp_ieee_inexact 0
		.amdhsa_exception_int_div_zero 0
	.end_amdhsa_kernel
	.section	.text._ZN7rocprim17ROCPRIM_304000_NS6detail33device_block_merge_oddeven_kernelINS1_37wrapped_merge_sort_block_merge_configINS0_14default_configE12hip_bfloat16N2at4cuda3cub6detail10OpaqueTypeILi8EEEEEPS5_SD_PSB_SE_jNS1_19radix_merge_compareILb1ELb0ES5_NS0_19identity_decomposerEEEEEvT0_T1_T2_T3_T4_SM_T5_,"axG",@progbits,_ZN7rocprim17ROCPRIM_304000_NS6detail33device_block_merge_oddeven_kernelINS1_37wrapped_merge_sort_block_merge_configINS0_14default_configE12hip_bfloat16N2at4cuda3cub6detail10OpaqueTypeILi8EEEEEPS5_SD_PSB_SE_jNS1_19radix_merge_compareILb1ELb0ES5_NS0_19identity_decomposerEEEEEvT0_T1_T2_T3_T4_SM_T5_,comdat
.Lfunc_end4:
	.size	_ZN7rocprim17ROCPRIM_304000_NS6detail33device_block_merge_oddeven_kernelINS1_37wrapped_merge_sort_block_merge_configINS0_14default_configE12hip_bfloat16N2at4cuda3cub6detail10OpaqueTypeILi8EEEEEPS5_SD_PSB_SE_jNS1_19radix_merge_compareILb1ELb0ES5_NS0_19identity_decomposerEEEEEvT0_T1_T2_T3_T4_SM_T5_, .Lfunc_end4-_ZN7rocprim17ROCPRIM_304000_NS6detail33device_block_merge_oddeven_kernelINS1_37wrapped_merge_sort_block_merge_configINS0_14default_configE12hip_bfloat16N2at4cuda3cub6detail10OpaqueTypeILi8EEEEEPS5_SD_PSB_SE_jNS1_19radix_merge_compareILb1ELb0ES5_NS0_19identity_decomposerEEEEEvT0_T1_T2_T3_T4_SM_T5_
                                        ; -- End function
	.section	.AMDGPU.csdata,"",@progbits
; Kernel info:
; codeLenInByte = 928
; NumSgprs: 27
; NumVgprs: 12
; NumAgprs: 0
; TotalNumVgprs: 12
; ScratchSize: 0
; MemoryBound: 0
; FloatMode: 240
; IeeeMode: 1
; LDSByteSize: 0 bytes/workgroup (compile time only)
; SGPRBlocks: 3
; VGPRBlocks: 1
; NumSGPRsForWavesPerEU: 27
; NumVGPRsForWavesPerEU: 12
; AccumOffset: 12
; Occupancy: 8
; WaveLimiterHint : 0
; COMPUTE_PGM_RSRC2:SCRATCH_EN: 0
; COMPUTE_PGM_RSRC2:USER_SGPR: 6
; COMPUTE_PGM_RSRC2:TRAP_HANDLER: 0
; COMPUTE_PGM_RSRC2:TGID_X_EN: 1
; COMPUTE_PGM_RSRC2:TGID_Y_EN: 0
; COMPUTE_PGM_RSRC2:TGID_Z_EN: 0
; COMPUTE_PGM_RSRC2:TIDIG_COMP_CNT: 0
; COMPUTE_PGM_RSRC3_GFX90A:ACCUM_OFFSET: 2
; COMPUTE_PGM_RSRC3_GFX90A:TG_SPLIT: 0
	.section	.text._ZN7rocprim17ROCPRIM_304000_NS6detail16transform_kernelINS1_24wrapped_transform_configINS0_14default_configE12hip_bfloat16EES5_PS5_S7_NS0_8identityIS5_EEEEvT1_mT2_T3_,"axG",@progbits,_ZN7rocprim17ROCPRIM_304000_NS6detail16transform_kernelINS1_24wrapped_transform_configINS0_14default_configE12hip_bfloat16EES5_PS5_S7_NS0_8identityIS5_EEEEvT1_mT2_T3_,comdat
	.protected	_ZN7rocprim17ROCPRIM_304000_NS6detail16transform_kernelINS1_24wrapped_transform_configINS0_14default_configE12hip_bfloat16EES5_PS5_S7_NS0_8identityIS5_EEEEvT1_mT2_T3_ ; -- Begin function _ZN7rocprim17ROCPRIM_304000_NS6detail16transform_kernelINS1_24wrapped_transform_configINS0_14default_configE12hip_bfloat16EES5_PS5_S7_NS0_8identityIS5_EEEEvT1_mT2_T3_
	.globl	_ZN7rocprim17ROCPRIM_304000_NS6detail16transform_kernelINS1_24wrapped_transform_configINS0_14default_configE12hip_bfloat16EES5_PS5_S7_NS0_8identityIS5_EEEEvT1_mT2_T3_
	.p2align	8
	.type	_ZN7rocprim17ROCPRIM_304000_NS6detail16transform_kernelINS1_24wrapped_transform_configINS0_14default_configE12hip_bfloat16EES5_PS5_S7_NS0_8identityIS5_EEEEvT1_mT2_T3_,@function
_ZN7rocprim17ROCPRIM_304000_NS6detail16transform_kernelINS1_24wrapped_transform_configINS0_14default_configE12hip_bfloat16EES5_PS5_S7_NS0_8identityIS5_EEEEvT1_mT2_T3_: ; @_ZN7rocprim17ROCPRIM_304000_NS6detail16transform_kernelINS1_24wrapped_transform_configINS0_14default_configE12hip_bfloat16EES5_PS5_S7_NS0_8identityIS5_EEEEvT1_mT2_T3_
; %bb.0:
	s_load_dword s7, s[4:5], 0x20
	s_load_dwordx4 s[0:3], s[4:5], 0x0
	s_load_dwordx2 s[14:15], s[4:5], 0x10
	s_lshl_b32 s4, s6, 9
	s_mov_b32 s5, 0
	s_waitcnt lgkmcnt(0)
	s_add_i32 s7, s7, -1
	s_lshl_b64 s[16:17], s[4:5], 1
	s_add_u32 s0, s0, s16
	s_addc_u32 s1, s1, s17
	v_lshlrev_b32_e32 v4, 1, v0
	v_mov_b32_e32 v1, s1
	v_add_co_u32_e32 v2, vcc, s0, v4
	s_cmp_lg_u32 s6, s7
	v_addc_co_u32_e32 v3, vcc, 0, v1, vcc
	s_cbranch_scc0 .LBB5_2
; %bb.1:
	global_load_ushort v1, v[2:3], off
	global_load_ushort v6, v[2:3], off offset:128
	global_load_ushort v7, v[2:3], off offset:256
	;; [unrolled: 1-line block ×7, first 2 shown]
	s_add_u32 s6, s14, s16
	s_addc_u32 s7, s15, s17
	s_mov_b64 s[18:19], -1
	s_waitcnt vmcnt(7)
	global_store_short v4, v1, s[6:7]
	s_waitcnt vmcnt(7)
	global_store_short v4, v6, s[6:7] offset:128
	s_waitcnt vmcnt(7)
	global_store_short v4, v7, s[6:7] offset:256
	;; [unrolled: 2-line block ×6, first 2 shown]
	s_cbranch_execz .LBB5_3
	s_branch .LBB5_28
.LBB5_2:
	s_mov_b64 s[18:19], 0
                                        ; implicit-def: $vgpr5
.LBB5_3:
	s_sub_i32 s18, s2, s4
	v_cmp_gt_u32_e32 vcc, s18, v0
                                        ; implicit-def: $vgpr6
	s_and_saveexec_b64 s[0:1], vcc
	s_cbranch_execz .LBB5_5
; %bb.4:
	global_load_ushort v6, v[2:3], off
.LBB5_5:
	s_or_b64 exec, exec, s[0:1]
	v_or_b32_e32 v1, 64, v0
	v_cmp_gt_u32_e64 s[0:1], s18, v1
                                        ; implicit-def: $vgpr7
	s_and_saveexec_b64 s[2:3], s[0:1]
	s_cbranch_execz .LBB5_7
; %bb.6:
	global_load_ushort v7, v[2:3], off offset:128
.LBB5_7:
	s_or_b64 exec, exec, s[2:3]
	v_or_b32_e32 v1, 0x80, v0
	v_cmp_gt_u32_e64 s[2:3], s18, v1
                                        ; implicit-def: $vgpr8
	s_and_saveexec_b64 s[4:5], s[2:3]
	s_cbranch_execz .LBB5_9
; %bb.8:
	global_load_ushort v8, v[2:3], off offset:256
.LBB5_9:
	s_or_b64 exec, exec, s[4:5]
	v_or_b32_e32 v1, 0xc0, v0
	v_cmp_gt_u32_e64 s[4:5], s18, v1
                                        ; implicit-def: $vgpr9
	s_and_saveexec_b64 s[6:7], s[4:5]
	s_cbranch_execz .LBB5_11
; %bb.10:
	global_load_ushort v9, v[2:3], off offset:384
.LBB5_11:
	s_or_b64 exec, exec, s[6:7]
	v_or_b32_e32 v1, 0x100, v0
	v_cmp_gt_u32_e64 s[6:7], s18, v1
                                        ; implicit-def: $vgpr10
	s_and_saveexec_b64 s[8:9], s[6:7]
	s_cbranch_execz .LBB5_13
; %bb.12:
	global_load_ushort v10, v[2:3], off offset:512
.LBB5_13:
	s_or_b64 exec, exec, s[8:9]
	v_or_b32_e32 v1, 0x140, v0
	v_cmp_gt_u32_e64 s[8:9], s18, v1
                                        ; implicit-def: $vgpr11
	s_and_saveexec_b64 s[10:11], s[8:9]
	s_cbranch_execz .LBB5_15
; %bb.14:
	global_load_ushort v11, v[2:3], off offset:640
.LBB5_15:
	s_or_b64 exec, exec, s[10:11]
	v_or_b32_e32 v1, 0x180, v0
	v_cmp_gt_u32_e64 s[10:11], s18, v1
                                        ; implicit-def: $vgpr12
	s_and_saveexec_b64 s[12:13], s[10:11]
	s_cbranch_execz .LBB5_17
; %bb.16:
	global_load_ushort v12, v[2:3], off offset:768
.LBB5_17:
	s_or_b64 exec, exec, s[12:13]
	v_or_b32_e32 v0, 0x1c0, v0
	v_cmp_gt_u32_e64 s[18:19], s18, v0
                                        ; implicit-def: $vgpr5
	s_and_saveexec_b64 s[12:13], s[18:19]
	s_cbranch_execz .LBB5_19
; %bb.18:
	global_load_ushort v5, v[2:3], off offset:896
.LBB5_19:
	s_or_b64 exec, exec, s[12:13]
	s_add_u32 s12, s14, s16
	s_addc_u32 s13, s15, s17
	v_mov_b32_e32 v1, s13
	v_add_co_u32_e64 v0, s[12:13], s12, v4
	v_addc_co_u32_e64 v1, s[12:13], 0, v1, s[12:13]
	s_and_saveexec_b64 s[12:13], vcc
	s_xor_b64 s[12:13], exec, s[12:13]
	s_cbranch_execnz .LBB5_31
; %bb.20:
	s_or_b64 exec, exec, s[12:13]
	s_and_saveexec_b64 s[12:13], s[0:1]
	s_cbranch_execnz .LBB5_32
.LBB5_21:
	s_or_b64 exec, exec, s[12:13]
	s_and_saveexec_b64 s[0:1], s[2:3]
	s_cbranch_execnz .LBB5_33
.LBB5_22:
	s_or_b64 exec, exec, s[0:1]
	s_and_saveexec_b64 s[0:1], s[4:5]
	s_cbranch_execnz .LBB5_34
.LBB5_23:
	s_or_b64 exec, exec, s[0:1]
	s_and_saveexec_b64 s[0:1], s[6:7]
	s_cbranch_execnz .LBB5_35
.LBB5_24:
	s_or_b64 exec, exec, s[0:1]
	s_and_saveexec_b64 s[0:1], s[8:9]
	s_cbranch_execnz .LBB5_36
.LBB5_25:
	s_or_b64 exec, exec, s[0:1]
	s_and_saveexec_b64 s[0:1], s[10:11]
	s_cbranch_execz .LBB5_27
.LBB5_26:
	s_waitcnt vmcnt(0)
	global_store_short v[0:1], v12, off offset:768
.LBB5_27:
	s_or_b64 exec, exec, s[0:1]
.LBB5_28:
	s_and_saveexec_b64 s[0:1], s[18:19]
	s_cbranch_execnz .LBB5_30
; %bb.29:
	s_endpgm
.LBB5_30:
	s_add_u32 s0, s14, s16
	s_addc_u32 s1, s15, s17
	s_waitcnt vmcnt(0)
	global_store_short v4, v5, s[0:1] offset:896
	s_endpgm
.LBB5_31:
	s_waitcnt vmcnt(0)
	global_store_short v[0:1], v6, off
	s_or_b64 exec, exec, s[12:13]
	s_and_saveexec_b64 s[12:13], s[0:1]
	s_cbranch_execz .LBB5_21
.LBB5_32:
	s_waitcnt vmcnt(0)
	global_store_short v[0:1], v7, off offset:128
	s_or_b64 exec, exec, s[12:13]
	s_and_saveexec_b64 s[0:1], s[2:3]
	s_cbranch_execz .LBB5_22
.LBB5_33:
	s_waitcnt vmcnt(0)
	global_store_short v[0:1], v8, off offset:256
	s_or_b64 exec, exec, s[0:1]
	s_and_saveexec_b64 s[0:1], s[4:5]
	s_cbranch_execz .LBB5_23
.LBB5_34:
	s_waitcnt vmcnt(0)
	global_store_short v[0:1], v9, off offset:384
	s_or_b64 exec, exec, s[0:1]
	s_and_saveexec_b64 s[0:1], s[6:7]
	s_cbranch_execz .LBB5_24
.LBB5_35:
	s_waitcnt vmcnt(0)
	global_store_short v[0:1], v10, off offset:512
	s_or_b64 exec, exec, s[0:1]
	s_and_saveexec_b64 s[0:1], s[8:9]
	s_cbranch_execz .LBB5_25
.LBB5_36:
	s_waitcnt vmcnt(0)
	global_store_short v[0:1], v11, off offset:640
	s_or_b64 exec, exec, s[0:1]
	s_and_saveexec_b64 s[0:1], s[10:11]
	s_cbranch_execnz .LBB5_26
	s_branch .LBB5_27
	.section	.rodata,"a",@progbits
	.p2align	6, 0x0
	.amdhsa_kernel _ZN7rocprim17ROCPRIM_304000_NS6detail16transform_kernelINS1_24wrapped_transform_configINS0_14default_configE12hip_bfloat16EES5_PS5_S7_NS0_8identityIS5_EEEEvT1_mT2_T3_
		.amdhsa_group_segment_fixed_size 0
		.amdhsa_private_segment_fixed_size 0
		.amdhsa_kernarg_size 288
		.amdhsa_user_sgpr_count 6
		.amdhsa_user_sgpr_private_segment_buffer 1
		.amdhsa_user_sgpr_dispatch_ptr 0
		.amdhsa_user_sgpr_queue_ptr 0
		.amdhsa_user_sgpr_kernarg_segment_ptr 1
		.amdhsa_user_sgpr_dispatch_id 0
		.amdhsa_user_sgpr_flat_scratch_init 0
		.amdhsa_user_sgpr_kernarg_preload_length 0
		.amdhsa_user_sgpr_kernarg_preload_offset 0
		.amdhsa_user_sgpr_private_segment_size 0
		.amdhsa_uses_dynamic_stack 0
		.amdhsa_system_sgpr_private_segment_wavefront_offset 0
		.amdhsa_system_sgpr_workgroup_id_x 1
		.amdhsa_system_sgpr_workgroup_id_y 0
		.amdhsa_system_sgpr_workgroup_id_z 0
		.amdhsa_system_sgpr_workgroup_info 0
		.amdhsa_system_vgpr_workitem_id 0
		.amdhsa_next_free_vgpr 13
		.amdhsa_next_free_sgpr 20
		.amdhsa_accum_offset 16
		.amdhsa_reserve_vcc 1
		.amdhsa_reserve_flat_scratch 0
		.amdhsa_float_round_mode_32 0
		.amdhsa_float_round_mode_16_64 0
		.amdhsa_float_denorm_mode_32 3
		.amdhsa_float_denorm_mode_16_64 3
		.amdhsa_dx10_clamp 1
		.amdhsa_ieee_mode 1
		.amdhsa_fp16_overflow 0
		.amdhsa_tg_split 0
		.amdhsa_exception_fp_ieee_invalid_op 0
		.amdhsa_exception_fp_denorm_src 0
		.amdhsa_exception_fp_ieee_div_zero 0
		.amdhsa_exception_fp_ieee_overflow 0
		.amdhsa_exception_fp_ieee_underflow 0
		.amdhsa_exception_fp_ieee_inexact 0
		.amdhsa_exception_int_div_zero 0
	.end_amdhsa_kernel
	.section	.text._ZN7rocprim17ROCPRIM_304000_NS6detail16transform_kernelINS1_24wrapped_transform_configINS0_14default_configE12hip_bfloat16EES5_PS5_S7_NS0_8identityIS5_EEEEvT1_mT2_T3_,"axG",@progbits,_ZN7rocprim17ROCPRIM_304000_NS6detail16transform_kernelINS1_24wrapped_transform_configINS0_14default_configE12hip_bfloat16EES5_PS5_S7_NS0_8identityIS5_EEEEvT1_mT2_T3_,comdat
.Lfunc_end5:
	.size	_ZN7rocprim17ROCPRIM_304000_NS6detail16transform_kernelINS1_24wrapped_transform_configINS0_14default_configE12hip_bfloat16EES5_PS5_S7_NS0_8identityIS5_EEEEvT1_mT2_T3_, .Lfunc_end5-_ZN7rocprim17ROCPRIM_304000_NS6detail16transform_kernelINS1_24wrapped_transform_configINS0_14default_configE12hip_bfloat16EES5_PS5_S7_NS0_8identityIS5_EEEEvT1_mT2_T3_
                                        ; -- End function
	.section	.AMDGPU.csdata,"",@progbits
; Kernel info:
; codeLenInByte = 836
; NumSgprs: 24
; NumVgprs: 13
; NumAgprs: 0
; TotalNumVgprs: 13
; ScratchSize: 0
; MemoryBound: 0
; FloatMode: 240
; IeeeMode: 1
; LDSByteSize: 0 bytes/workgroup (compile time only)
; SGPRBlocks: 2
; VGPRBlocks: 1
; NumSGPRsForWavesPerEU: 24
; NumVGPRsForWavesPerEU: 13
; AccumOffset: 16
; Occupancy: 8
; WaveLimiterHint : 1
; COMPUTE_PGM_RSRC2:SCRATCH_EN: 0
; COMPUTE_PGM_RSRC2:USER_SGPR: 6
; COMPUTE_PGM_RSRC2:TRAP_HANDLER: 0
; COMPUTE_PGM_RSRC2:TGID_X_EN: 1
; COMPUTE_PGM_RSRC2:TGID_Y_EN: 0
; COMPUTE_PGM_RSRC2:TGID_Z_EN: 0
; COMPUTE_PGM_RSRC2:TIDIG_COMP_CNT: 0
; COMPUTE_PGM_RSRC3_GFX90A:ACCUM_OFFSET: 3
; COMPUTE_PGM_RSRC3_GFX90A:TG_SPLIT: 0
	.section	.text._ZN7rocprim17ROCPRIM_304000_NS6detail16transform_kernelINS1_24wrapped_transform_configINS0_14default_configEN2at4cuda3cub6detail10OpaqueTypeILi8EEEEESA_PSA_SC_NS0_8identityISA_EEEEvT1_mT2_T3_,"axG",@progbits,_ZN7rocprim17ROCPRIM_304000_NS6detail16transform_kernelINS1_24wrapped_transform_configINS0_14default_configEN2at4cuda3cub6detail10OpaqueTypeILi8EEEEESA_PSA_SC_NS0_8identityISA_EEEEvT1_mT2_T3_,comdat
	.protected	_ZN7rocprim17ROCPRIM_304000_NS6detail16transform_kernelINS1_24wrapped_transform_configINS0_14default_configEN2at4cuda3cub6detail10OpaqueTypeILi8EEEEESA_PSA_SC_NS0_8identityISA_EEEEvT1_mT2_T3_ ; -- Begin function _ZN7rocprim17ROCPRIM_304000_NS6detail16transform_kernelINS1_24wrapped_transform_configINS0_14default_configEN2at4cuda3cub6detail10OpaqueTypeILi8EEEEESA_PSA_SC_NS0_8identityISA_EEEEvT1_mT2_T3_
	.globl	_ZN7rocprim17ROCPRIM_304000_NS6detail16transform_kernelINS1_24wrapped_transform_configINS0_14default_configEN2at4cuda3cub6detail10OpaqueTypeILi8EEEEESA_PSA_SC_NS0_8identityISA_EEEEvT1_mT2_T3_
	.p2align	8
	.type	_ZN7rocprim17ROCPRIM_304000_NS6detail16transform_kernelINS1_24wrapped_transform_configINS0_14default_configEN2at4cuda3cub6detail10OpaqueTypeILi8EEEEESA_PSA_SC_NS0_8identityISA_EEEEvT1_mT2_T3_,@function
_ZN7rocprim17ROCPRIM_304000_NS6detail16transform_kernelINS1_24wrapped_transform_configINS0_14default_configEN2at4cuda3cub6detail10OpaqueTypeILi8EEEEESA_PSA_SC_NS0_8identityISA_EEEEvT1_mT2_T3_: ; @_ZN7rocprim17ROCPRIM_304000_NS6detail16transform_kernelINS1_24wrapped_transform_configINS0_14default_configEN2at4cuda3cub6detail10OpaqueTypeILi8EEEEESA_PSA_SC_NS0_8identityISA_EEEEvT1_mT2_T3_
; %bb.0:
	s_load_dword s7, s[4:5], 0x20
	s_load_dwordx4 s[0:3], s[4:5], 0x0
	s_load_dwordx2 s[8:9], s[4:5], 0x10
	s_lshl_b32 s10, s6, 9
	s_mov_b32 s11, 0
	s_waitcnt lgkmcnt(0)
	s_add_i32 s7, s7, -1
	s_lshl_b64 s[4:5], s[10:11], 3
	s_add_u32 s0, s0, s4
	s_addc_u32 s1, s1, s5
	v_lshlrev_b32_e32 v1, 3, v0
	v_mov_b32_e32 v2, s1
	v_add_co_u32_e32 v4, vcc, s0, v1
	s_cmp_lg_u32 s6, s7
	v_addc_co_u32_e32 v5, vcc, 0, v2, vcc
	s_cbranch_scc0 .LBB6_2
; %bb.1:
	global_load_dwordx2 v[6:7], v[4:5], off
	global_load_dwordx2 v[2:3], v[4:5], off offset:2048
	s_add_u32 s0, s8, s4
	s_addc_u32 s1, s9, s5
	s_waitcnt vmcnt(1)
	global_store_dwordx2 v1, v[6:7], s[0:1]
	s_mov_b64 s[0:1], -1
	s_cbranch_execz .LBB6_3
	s_branch .LBB6_10
.LBB6_2:
	s_mov_b64 s[0:1], 0
                                        ; implicit-def: $vgpr2_vgpr3
.LBB6_3:
	s_sub_i32 s2, s2, s10
	v_cmp_gt_u32_e32 vcc, s2, v0
                                        ; implicit-def: $vgpr6_vgpr7
	s_and_saveexec_b64 s[0:1], vcc
	s_cbranch_execz .LBB6_5
; %bb.4:
	global_load_dwordx2 v[6:7], v[4:5], off
.LBB6_5:
	s_or_b64 exec, exec, s[0:1]
	v_or_b32_e32 v0, 0x100, v0
	v_cmp_gt_u32_e64 s[0:1], s2, v0
                                        ; implicit-def: $vgpr2_vgpr3
	s_and_saveexec_b64 s[2:3], s[0:1]
	s_cbranch_execz .LBB6_7
; %bb.6:
	global_load_dwordx2 v[2:3], v[4:5], off offset:2048
.LBB6_7:
	s_or_b64 exec, exec, s[2:3]
	s_and_saveexec_b64 s[2:3], vcc
	s_xor_b64 s[2:3], exec, s[2:3]
	s_cbranch_execz .LBB6_9
; %bb.8:
	s_add_u32 s6, s8, s4
	s_addc_u32 s7, s9, s5
	s_waitcnt vmcnt(0)
	global_store_dwordx2 v1, v[6:7], s[6:7]
.LBB6_9:
	s_or_b64 exec, exec, s[2:3]
.LBB6_10:
	s_and_saveexec_b64 s[2:3], s[0:1]
	s_cbranch_execnz .LBB6_12
; %bb.11:
	s_endpgm
.LBB6_12:
	s_add_u32 s0, s8, s4
	s_addc_u32 s1, s9, s5
	s_waitcnt vmcnt(0)
	global_store_dwordx2 v1, v[2:3], s[0:1] offset:2048
	s_endpgm
	.section	.rodata,"a",@progbits
	.p2align	6, 0x0
	.amdhsa_kernel _ZN7rocprim17ROCPRIM_304000_NS6detail16transform_kernelINS1_24wrapped_transform_configINS0_14default_configEN2at4cuda3cub6detail10OpaqueTypeILi8EEEEESA_PSA_SC_NS0_8identityISA_EEEEvT1_mT2_T3_
		.amdhsa_group_segment_fixed_size 0
		.amdhsa_private_segment_fixed_size 0
		.amdhsa_kernarg_size 288
		.amdhsa_user_sgpr_count 6
		.amdhsa_user_sgpr_private_segment_buffer 1
		.amdhsa_user_sgpr_dispatch_ptr 0
		.amdhsa_user_sgpr_queue_ptr 0
		.amdhsa_user_sgpr_kernarg_segment_ptr 1
		.amdhsa_user_sgpr_dispatch_id 0
		.amdhsa_user_sgpr_flat_scratch_init 0
		.amdhsa_user_sgpr_kernarg_preload_length 0
		.amdhsa_user_sgpr_kernarg_preload_offset 0
		.amdhsa_user_sgpr_private_segment_size 0
		.amdhsa_uses_dynamic_stack 0
		.amdhsa_system_sgpr_private_segment_wavefront_offset 0
		.amdhsa_system_sgpr_workgroup_id_x 1
		.amdhsa_system_sgpr_workgroup_id_y 0
		.amdhsa_system_sgpr_workgroup_id_z 0
		.amdhsa_system_sgpr_workgroup_info 0
		.amdhsa_system_vgpr_workitem_id 0
		.amdhsa_next_free_vgpr 8
		.amdhsa_next_free_sgpr 12
		.amdhsa_accum_offset 8
		.amdhsa_reserve_vcc 1
		.amdhsa_reserve_flat_scratch 0
		.amdhsa_float_round_mode_32 0
		.amdhsa_float_round_mode_16_64 0
		.amdhsa_float_denorm_mode_32 3
		.amdhsa_float_denorm_mode_16_64 3
		.amdhsa_dx10_clamp 1
		.amdhsa_ieee_mode 1
		.amdhsa_fp16_overflow 0
		.amdhsa_tg_split 0
		.amdhsa_exception_fp_ieee_invalid_op 0
		.amdhsa_exception_fp_denorm_src 0
		.amdhsa_exception_fp_ieee_div_zero 0
		.amdhsa_exception_fp_ieee_overflow 0
		.amdhsa_exception_fp_ieee_underflow 0
		.amdhsa_exception_fp_ieee_inexact 0
		.amdhsa_exception_int_div_zero 0
	.end_amdhsa_kernel
	.section	.text._ZN7rocprim17ROCPRIM_304000_NS6detail16transform_kernelINS1_24wrapped_transform_configINS0_14default_configEN2at4cuda3cub6detail10OpaqueTypeILi8EEEEESA_PSA_SC_NS0_8identityISA_EEEEvT1_mT2_T3_,"axG",@progbits,_ZN7rocprim17ROCPRIM_304000_NS6detail16transform_kernelINS1_24wrapped_transform_configINS0_14default_configEN2at4cuda3cub6detail10OpaqueTypeILi8EEEEESA_PSA_SC_NS0_8identityISA_EEEEvT1_mT2_T3_,comdat
.Lfunc_end6:
	.size	_ZN7rocprim17ROCPRIM_304000_NS6detail16transform_kernelINS1_24wrapped_transform_configINS0_14default_configEN2at4cuda3cub6detail10OpaqueTypeILi8EEEEESA_PSA_SC_NS0_8identityISA_EEEEvT1_mT2_T3_, .Lfunc_end6-_ZN7rocprim17ROCPRIM_304000_NS6detail16transform_kernelINS1_24wrapped_transform_configINS0_14default_configEN2at4cuda3cub6detail10OpaqueTypeILi8EEEEESA_PSA_SC_NS0_8identityISA_EEEEvT1_mT2_T3_
                                        ; -- End function
	.section	.AMDGPU.csdata,"",@progbits
; Kernel info:
; codeLenInByte = 264
; NumSgprs: 16
; NumVgprs: 8
; NumAgprs: 0
; TotalNumVgprs: 8
; ScratchSize: 0
; MemoryBound: 0
; FloatMode: 240
; IeeeMode: 1
; LDSByteSize: 0 bytes/workgroup (compile time only)
; SGPRBlocks: 1
; VGPRBlocks: 0
; NumSGPRsForWavesPerEU: 16
; NumVGPRsForWavesPerEU: 8
; AccumOffset: 8
; Occupancy: 8
; WaveLimiterHint : 1
; COMPUTE_PGM_RSRC2:SCRATCH_EN: 0
; COMPUTE_PGM_RSRC2:USER_SGPR: 6
; COMPUTE_PGM_RSRC2:TRAP_HANDLER: 0
; COMPUTE_PGM_RSRC2:TGID_X_EN: 1
; COMPUTE_PGM_RSRC2:TGID_Y_EN: 0
; COMPUTE_PGM_RSRC2:TGID_Z_EN: 0
; COMPUTE_PGM_RSRC2:TIDIG_COMP_CNT: 0
; COMPUTE_PGM_RSRC3_GFX90A:ACCUM_OFFSET: 1
; COMPUTE_PGM_RSRC3_GFX90A:TG_SPLIT: 0
	.section	.text._ZN7rocprim17ROCPRIM_304000_NS6detail26onesweep_histograms_kernelINS1_34wrapped_radix_sort_onesweep_configINS0_14default_configE12hip_bfloat16N2at4cuda3cub6detail10OpaqueTypeILi8EEEEELb1EPKS5_mNS0_19identity_decomposerEEEvT1_PT2_SH_SH_T3_jj,"axG",@progbits,_ZN7rocprim17ROCPRIM_304000_NS6detail26onesweep_histograms_kernelINS1_34wrapped_radix_sort_onesweep_configINS0_14default_configE12hip_bfloat16N2at4cuda3cub6detail10OpaqueTypeILi8EEEEELb1EPKS5_mNS0_19identity_decomposerEEEvT1_PT2_SH_SH_T3_jj,comdat
	.protected	_ZN7rocprim17ROCPRIM_304000_NS6detail26onesweep_histograms_kernelINS1_34wrapped_radix_sort_onesweep_configINS0_14default_configE12hip_bfloat16N2at4cuda3cub6detail10OpaqueTypeILi8EEEEELb1EPKS5_mNS0_19identity_decomposerEEEvT1_PT2_SH_SH_T3_jj ; -- Begin function _ZN7rocprim17ROCPRIM_304000_NS6detail26onesweep_histograms_kernelINS1_34wrapped_radix_sort_onesweep_configINS0_14default_configE12hip_bfloat16N2at4cuda3cub6detail10OpaqueTypeILi8EEEEELb1EPKS5_mNS0_19identity_decomposerEEEvT1_PT2_SH_SH_T3_jj
	.globl	_ZN7rocprim17ROCPRIM_304000_NS6detail26onesweep_histograms_kernelINS1_34wrapped_radix_sort_onesweep_configINS0_14default_configE12hip_bfloat16N2at4cuda3cub6detail10OpaqueTypeILi8EEEEELb1EPKS5_mNS0_19identity_decomposerEEEvT1_PT2_SH_SH_T3_jj
	.p2align	8
	.type	_ZN7rocprim17ROCPRIM_304000_NS6detail26onesweep_histograms_kernelINS1_34wrapped_radix_sort_onesweep_configINS0_14default_configE12hip_bfloat16N2at4cuda3cub6detail10OpaqueTypeILi8EEEEELb1EPKS5_mNS0_19identity_decomposerEEEvT1_PT2_SH_SH_T3_jj,@function
_ZN7rocprim17ROCPRIM_304000_NS6detail26onesweep_histograms_kernelINS1_34wrapped_radix_sort_onesweep_configINS0_14default_configE12hip_bfloat16N2at4cuda3cub6detail10OpaqueTypeILi8EEEEELb1EPKS5_mNS0_19identity_decomposerEEEvT1_PT2_SH_SH_T3_jj: ; @_ZN7rocprim17ROCPRIM_304000_NS6detail26onesweep_histograms_kernelINS1_34wrapped_radix_sort_onesweep_configINS0_14default_configE12hip_bfloat16N2at4cuda3cub6detail10OpaqueTypeILi8EEEEELb1EPKS5_mNS0_19identity_decomposerEEEvT1_PT2_SH_SH_T3_jj
; %bb.0:
	s_load_dwordx8 s[24:31], s[4:5], 0x0
	s_load_dwordx2 s[34:35], s[4:5], 0x24
	s_mov_b32 s7, 0
	s_mul_i32 s1, s6, 0x1800
	s_mul_hi_u32 s0, s6, 0x1800
	s_waitcnt lgkmcnt(0)
	v_pk_mov_b32 v[2:3], s[30:31], s[30:31] op_sel:[0,1]
	v_cmp_ge_u64_e32 vcc, s[6:7], v[2:3]
	s_add_u32 s24, s24, s1
	s_addc_u32 s25, s25, s0
	s_mov_b64 s[0:1], -1
	v_lshlrev_b32_e32 v1, 1, v0
	s_cbranch_vccz .LBB7_86
; %bb.1:
	s_mul_i32 s0, s30, 0xfffff400
	s_add_i32 s28, s0, s28
	v_mov_b32_e32 v3, s25
	v_add_co_u32_e32 v2, vcc, s24, v1
	v_addc_co_u32_e32 v3, vcc, 0, v3, vcc
	v_cmp_gt_u32_e64 s[22:23], s28, v0
                                        ; implicit-def: $vgpr15
	s_and_saveexec_b64 s[0:1], s[22:23]
	s_cbranch_execz .LBB7_3
; %bb.2:
	global_load_ushort v15, v[2:3], off
.LBB7_3:
	s_or_b64 exec, exec, s[0:1]
	v_or_b32_e32 v4, 0x100, v0
	v_cmp_gt_u32_e64 s[20:21], s28, v4
                                        ; implicit-def: $vgpr14
	s_and_saveexec_b64 s[0:1], s[20:21]
	s_cbranch_execz .LBB7_5
; %bb.4:
	global_load_ushort v14, v[2:3], off offset:512
.LBB7_5:
	s_or_b64 exec, exec, s[0:1]
	v_or_b32_e32 v4, 0x200, v0
	v_cmp_gt_u32_e64 s[18:19], s28, v4
                                        ; implicit-def: $vgpr13
	s_and_saveexec_b64 s[0:1], s[18:19]
	s_cbranch_execz .LBB7_7
; %bb.6:
	global_load_ushort v13, v[2:3], off offset:1024
.LBB7_7:
	s_or_b64 exec, exec, s[0:1]
	v_or_b32_e32 v4, 0x300, v0
	v_cmp_gt_u32_e64 s[16:17], s28, v4
                                        ; implicit-def: $vgpr12
	s_and_saveexec_b64 s[0:1], s[16:17]
	s_cbranch_execz .LBB7_9
; %bb.8:
	global_load_ushort v12, v[2:3], off offset:1536
.LBB7_9:
	s_or_b64 exec, exec, s[0:1]
	v_or_b32_e32 v4, 0x400, v0
	v_cmp_gt_u32_e64 s[14:15], s28, v4
                                        ; implicit-def: $vgpr11
	s_and_saveexec_b64 s[0:1], s[14:15]
	s_cbranch_execz .LBB7_11
; %bb.10:
	global_load_ushort v11, v[2:3], off offset:2048
.LBB7_11:
	s_or_b64 exec, exec, s[0:1]
	v_or_b32_e32 v4, 0x500, v0
	v_cmp_gt_u32_e64 s[12:13], s28, v4
                                        ; implicit-def: $vgpr10
	s_and_saveexec_b64 s[0:1], s[12:13]
	s_cbranch_execz .LBB7_13
; %bb.12:
	global_load_ushort v10, v[2:3], off offset:2560
.LBB7_13:
	s_or_b64 exec, exec, s[0:1]
	v_or_b32_e32 v4, 0x600, v0
	v_cmp_gt_u32_e64 s[10:11], s28, v4
                                        ; implicit-def: $vgpr9
	s_and_saveexec_b64 s[0:1], s[10:11]
	s_cbranch_execz .LBB7_15
; %bb.14:
	global_load_ushort v9, v[2:3], off offset:3072
.LBB7_15:
	s_or_b64 exec, exec, s[0:1]
	v_or_b32_e32 v4, 0x700, v0
	v_cmp_gt_u32_e64 s[8:9], s28, v4
                                        ; implicit-def: $vgpr8
	s_and_saveexec_b64 s[0:1], s[8:9]
	s_cbranch_execz .LBB7_17
; %bb.16:
	global_load_ushort v8, v[2:3], off offset:3584
.LBB7_17:
	s_or_b64 exec, exec, s[0:1]
	v_or_b32_e32 v4, 0x800, v0
	v_cmp_gt_u32_e64 s[6:7], s28, v4
                                        ; implicit-def: $vgpr7
	s_and_saveexec_b64 s[0:1], s[6:7]
	s_cbranch_execz .LBB7_19
; %bb.18:
	v_add_co_u32_e32 v4, vcc, 0x1000, v2
	v_addc_co_u32_e32 v5, vcc, 0, v3, vcc
	global_load_ushort v7, v[4:5], off
.LBB7_19:
	s_or_b64 exec, exec, s[0:1]
	v_or_b32_e32 v4, 0x900, v0
	v_cmp_gt_u32_e64 s[4:5], s28, v4
                                        ; implicit-def: $vgpr6
	s_and_saveexec_b64 s[0:1], s[4:5]
	s_cbranch_execz .LBB7_21
; %bb.20:
	v_add_co_u32_e32 v4, vcc, 0x1000, v2
	v_addc_co_u32_e32 v5, vcc, 0, v3, vcc
	global_load_ushort v6, v[4:5], off offset:512
.LBB7_21:
	s_or_b64 exec, exec, s[0:1]
	v_or_b32_e32 v4, 0xa00, v0
	v_cmp_gt_u32_e64 s[2:3], s28, v4
                                        ; implicit-def: $vgpr5
	s_and_saveexec_b64 s[0:1], s[2:3]
	s_cbranch_execz .LBB7_23
; %bb.22:
	v_add_co_u32_e32 v4, vcc, 0x1000, v2
	v_addc_co_u32_e32 v5, vcc, 0, v3, vcc
	global_load_ushort v5, v[4:5], off offset:1024
.LBB7_23:
	s_or_b64 exec, exec, s[0:1]
	v_or_b32_e32 v4, 0xb00, v0
	v_cmp_gt_u32_e64 s[0:1], s28, v4
                                        ; implicit-def: $vgpr4
	s_and_saveexec_b64 s[28:29], s[0:1]
	s_cbranch_execz .LBB7_25
; %bb.24:
	v_add_co_u32_e32 v2, vcc, 0x1000, v2
	v_addc_co_u32_e32 v3, vcc, 0, v3, vcc
	global_load_ushort v4, v[2:3], off offset:1536
.LBB7_25:
	s_or_b64 exec, exec, s[28:29]
	v_lshlrev_b32_e32 v2, 2, v0
	s_mov_b32 s33, 0
	s_mov_b64 s[28:29], 0
	v_mov_b32_e32 v3, 0
	s_branch .LBB7_27
.LBB7_26:                               ;   in Loop: Header=BB7_27 Depth=1
	s_or_b64 exec, exec, s[36:37]
	s_add_i32 s33, s33, 2
	v_cmp_eq_u32_e64 s[30:31], 8, s33
	s_or_b64 s[28:29], s[30:31], s[28:29]
	v_add_u32_e32 v2, 0x800, v2
	s_andn2_b64 exec, exec, s[28:29]
	s_cbranch_execz .LBB7_31
.LBB7_27:                               ; =>This Inner Loop Header: Depth=1
	s_or_b32 s30, s33, 1
	v_cmp_le_u32_e64 s[30:31], s30, 7
	v_cmp_le_u32_e64 s[38:39], s33, 7
	s_and_saveexec_b64 s[36:37], s[38:39]
	s_cbranch_execz .LBB7_29
; %bb.28:                               ;   in Loop: Header=BB7_27 Depth=1
	ds_write_b32 v2, v3
.LBB7_29:                               ;   in Loop: Header=BB7_27 Depth=1
	s_or_b64 exec, exec, s[36:37]
	s_and_saveexec_b64 s[36:37], s[30:31]
	s_cbranch_execz .LBB7_26
; %bb.30:                               ;   in Loop: Header=BB7_27 Depth=1
	ds_write_b32 v2, v3 offset:1024
	s_branch .LBB7_26
.LBB7_31:
	s_or_b64 exec, exec, s[28:29]
	s_cmp_gt_u32 s35, s34
	s_cselect_b64 s[28:29], -1, 0
	s_cmp_le_u32 s35, s34
	s_waitcnt lgkmcnt(0)
	s_barrier
	s_cbranch_scc1 .LBB7_80
; %bb.32:
	v_mov_b32_e32 v3, 0x7fff
	s_waitcnt vmcnt(0)
	v_cmp_gt_i16_e32 vcc, 0, v15
	v_cndmask_b32_e64 v16, v3, 0, vcc
	v_and_b32_e32 v2, 3, v0
	v_xor_b32_e32 v15, v16, v15
	s_movk_i32 s30, 0x8000
	v_cmp_ne_u16_e32 vcc, s30, v15
	v_lshlrev_b32_e32 v2, 2, v2
	s_sub_i32 s33, s35, s34
	v_cndmask_b32_e32 v3, v3, v15, vcc
	v_mov_b32_e32 v15, 1
	s_mov_b32 s36, s33
	v_mov_b32_e32 v16, v2
	s_mov_b32 s37, s34
	s_branch .LBB7_34
.LBB7_33:                               ;   in Loop: Header=BB7_34 Depth=1
	s_or_b64 exec, exec, s[30:31]
	s_add_i32 s37, s37, 8
	s_add_i32 s36, s36, -8
	s_cmp_ge_u32 s37, s35
	v_add_u32_e32 v16, 0x1000, v16
	s_cbranch_scc1 .LBB7_36
.LBB7_34:                               ; =>This Inner Loop Header: Depth=1
	s_and_saveexec_b64 s[30:31], s[22:23]
	s_cbranch_execz .LBB7_33
; %bb.35:                               ;   in Loop: Header=BB7_34 Depth=1
	s_min_u32 s38, s36, 8
	v_lshrrev_b32_sdwa v17, s37, v3 dst_sel:DWORD dst_unused:UNUSED_PAD src0_sel:DWORD src1_sel:WORD_0
	v_bfe_u32 v17, v17, 0, s38
	v_lshl_add_u32 v17, v17, 4, v16
	ds_add_u32 v17, v15
	s_branch .LBB7_33
.LBB7_36:
	v_mov_b32_e32 v3, 0x7fff
	v_cmp_gt_i16_e32 vcc, 0, v14
	v_cndmask_b32_e64 v15, v3, 0, vcc
	v_xor_b32_e32 v14, v15, v14
	s_movk_i32 s22, 0x8000
	v_cmp_ne_u16_e32 vcc, s22, v14
	v_cndmask_b32_e32 v3, v3, v14, vcc
	v_mov_b32_e32 v14, 1
	s_mov_b32 s30, s33
	v_mov_b32_e32 v15, v2
	s_mov_b32 s31, s34
	s_branch .LBB7_38
.LBB7_37:                               ;   in Loop: Header=BB7_38 Depth=1
	s_or_b64 exec, exec, s[22:23]
	s_add_i32 s31, s31, 8
	s_add_i32 s30, s30, -8
	s_cmp_lt_u32 s31, s35
	v_add_u32_e32 v15, 0x1000, v15
	s_cbranch_scc0 .LBB7_40
.LBB7_38:                               ; =>This Inner Loop Header: Depth=1
	s_and_saveexec_b64 s[22:23], s[20:21]
	s_cbranch_execz .LBB7_37
; %bb.39:                               ;   in Loop: Header=BB7_38 Depth=1
	s_min_u32 s36, s30, 8
	v_lshrrev_b32_sdwa v16, s31, v3 dst_sel:DWORD dst_unused:UNUSED_PAD src0_sel:DWORD src1_sel:WORD_0
	v_bfe_u32 v16, v16, 0, s36
	v_lshl_add_u32 v16, v16, 4, v15
	ds_add_u32 v16, v14
	s_branch .LBB7_37
.LBB7_40:
	v_mov_b32_e32 v3, 0x7fff
	v_cmp_gt_i16_e32 vcc, 0, v13
	v_cndmask_b32_e64 v14, v3, 0, vcc
	v_xor_b32_e32 v13, v14, v13
	s_movk_i32 s20, 0x8000
	v_cmp_ne_u16_e32 vcc, s20, v13
	v_cndmask_b32_e32 v3, v3, v13, vcc
	v_mov_b32_e32 v13, 1
	s_mov_b32 s22, s33
	v_mov_b32_e32 v14, v2
	s_mov_b32 s23, s34
	s_branch .LBB7_42
.LBB7_41:                               ;   in Loop: Header=BB7_42 Depth=1
	s_or_b64 exec, exec, s[20:21]
	s_add_i32 s23, s23, 8
	s_add_i32 s22, s22, -8
	s_cmp_lt_u32 s23, s35
	v_add_u32_e32 v14, 0x1000, v14
	s_cbranch_scc0 .LBB7_44
.LBB7_42:                               ; =>This Inner Loop Header: Depth=1
	s_and_saveexec_b64 s[20:21], s[18:19]
	s_cbranch_execz .LBB7_41
; %bb.43:                               ;   in Loop: Header=BB7_42 Depth=1
	s_min_u32 s30, s22, 8
	v_lshrrev_b32_sdwa v15, s23, v3 dst_sel:DWORD dst_unused:UNUSED_PAD src0_sel:DWORD src1_sel:WORD_0
	v_bfe_u32 v15, v15, 0, s30
	v_lshl_add_u32 v15, v15, 4, v14
	ds_add_u32 v15, v13
	s_branch .LBB7_41
.LBB7_44:
	;; [unrolled: 30-line block ×10, first 2 shown]
	v_mov_b32_e32 v3, 0x7fff
	v_cmp_gt_i16_e32 vcc, 0, v4
	v_cndmask_b32_e64 v5, v3, 0, vcc
	v_xor_b32_e32 v4, v5, v4
	s_movk_i32 s2, 0x8000
	v_cmp_ne_u16_e32 vcc, s2, v4
	v_cndmask_b32_e32 v3, v3, v4, vcc
	v_mov_b32_e32 v4, 1
	s_mov_b32 s4, s34
	s_branch .LBB7_78
.LBB7_77:                               ;   in Loop: Header=BB7_78 Depth=1
	s_or_b64 exec, exec, s[2:3]
	s_add_i32 s4, s4, 8
	s_add_i32 s33, s33, -8
	s_cmp_lt_u32 s4, s35
	v_add_u32_e32 v2, 0x1000, v2
	s_cbranch_scc0 .LBB7_80
.LBB7_78:                               ; =>This Inner Loop Header: Depth=1
	s_and_saveexec_b64 s[2:3], s[0:1]
	s_cbranch_execz .LBB7_77
; %bb.79:                               ;   in Loop: Header=BB7_78 Depth=1
	s_min_u32 s5, s33, 8
	v_lshrrev_b32_sdwa v5, s4, v3 dst_sel:DWORD dst_unused:UNUSED_PAD src0_sel:DWORD src1_sel:WORD_0
	v_bfe_u32 v5, v5, 0, s5
	v_lshl_add_u32 v5, v5, 4, v2
	ds_add_u32 v5, v4
	s_branch .LBB7_77
.LBB7_80:
	s_and_b64 vcc, exec, s[28:29]
	s_waitcnt lgkmcnt(0)
	s_barrier
	s_cbranch_vccz .LBB7_85
; %bb.81:
	s_movk_i32 s0, 0x100
	v_cmp_gt_u32_e32 vcc, s0, v0
	s_waitcnt vmcnt(0)
	v_lshlrev_b32_e32 v4, 4, v0
	v_mov_b32_e32 v3, 0
	v_mov_b32_e32 v2, v0
	s_mov_b32 s4, s34
	s_branch .LBB7_83
.LBB7_82:                               ;   in Loop: Header=BB7_83 Depth=1
	s_or_b64 exec, exec, s[2:3]
	s_add_i32 s4, s4, 8
	v_add_u32_e32 v2, 0x100, v2
	s_cmp_lt_u32 s4, s35
	v_add_u32_e32 v4, 0x1000, v4
	s_cbranch_scc0 .LBB7_85
.LBB7_83:                               ; =>This Inner Loop Header: Depth=1
	s_and_saveexec_b64 s[2:3], vcc
	s_cbranch_execz .LBB7_82
; %bb.84:                               ;   in Loop: Header=BB7_83 Depth=1
	ds_read2_b32 v[6:7], v4 offset1:1
	ds_read2_b32 v[8:9], v4 offset0:2 offset1:3
	v_lshlrev_b64 v[10:11], 3, v[2:3]
	v_mov_b32_e32 v5, s27
	s_waitcnt lgkmcnt(1)
	v_add_u32_e32 v6, v7, v6
	s_waitcnt lgkmcnt(0)
	v_add3_u32 v6, v6, v8, v9
	v_add_co_u32_e64 v8, s[0:1], s26, v10
	v_addc_co_u32_e64 v9, s[0:1], v5, v11, s[0:1]
	v_mov_b32_e32 v7, v3
	global_atomic_add_x2 v[8:9], v[6:7], off
	s_branch .LBB7_82
.LBB7_85:
	s_mov_b64 s[0:1], 0
.LBB7_86:
	s_and_b64 vcc, exec, s[0:1]
	s_cbranch_vccz .LBB7_134
; %bb.87:
	v_mov_b32_e32 v2, s25
	v_add_co_u32_e32 v3, vcc, s24, v1
	s_waitcnt vmcnt(0)
	v_addc_co_u32_e32 v4, vcc, 0, v2, vcc
	global_load_ushort v14, v1, s[24:25] offset:512
	global_load_ushort v13, v1, s[24:25] offset:1024
	;; [unrolled: 1-line block ×7, first 2 shown]
	v_add_co_u32_e32 v2, vcc, 0x1000, v3
	v_addc_co_u32_e32 v3, vcc, 0, v4, vcc
	global_load_ushort v9, v[2:3], off
	global_load_ushort v7, v[2:3], off offset:512
	global_load_ushort v5, v[2:3], off offset:1024
	global_load_ushort v15, v1, s[24:25]
	global_load_ushort v4, v[2:3], off offset:1536
	s_cmp_eq_u32 s34, 0
	s_cselect_b64 s[0:1], -1, 0
	s_cmp_eq_u32 s35, 16
	s_cselect_b64 s[2:3], -1, 0
	s_and_b64 s[2:3], s[0:1], s[2:3]
	s_mov_b32 s6, 0
	s_mov_b64 s[0:1], -1
	s_and_b64 vcc, exec, s[2:3]
	v_lshlrev_b32_e32 v1, 2, v0
	s_cbranch_vccnz .LBB7_125
; %bb.88:
	v_lshlrev_b32_e32 v2, 2, v0
	s_mov_b64 s[0:1], 0
	v_mov_b32_e32 v3, 0
	s_branch .LBB7_90
.LBB7_89:                               ;   in Loop: Header=BB7_90 Depth=1
	s_or_b64 exec, exec, s[4:5]
	s_add_i32 s6, s6, 2
	v_cmp_eq_u32_e64 s[2:3], 8, s6
	s_or_b64 s[0:1], s[2:3], s[0:1]
	v_add_u32_e32 v2, 0x800, v2
	s_andn2_b64 exec, exec, s[0:1]
	s_cbranch_execz .LBB7_94
.LBB7_90:                               ; =>This Inner Loop Header: Depth=1
	s_or_b32 s2, s6, 1
	v_cmp_le_u32_e64 s[2:3], s2, 7
	v_cmp_le_u32_e64 s[8:9], s6, 7
	s_and_saveexec_b64 s[4:5], s[8:9]
	s_cbranch_execz .LBB7_92
; %bb.91:                               ;   in Loop: Header=BB7_90 Depth=1
	ds_write_b32 v2, v3
.LBB7_92:                               ;   in Loop: Header=BB7_90 Depth=1
	s_or_b64 exec, exec, s[4:5]
	s_and_saveexec_b64 s[4:5], s[2:3]
	s_cbranch_execz .LBB7_89
; %bb.93:                               ;   in Loop: Header=BB7_90 Depth=1
	ds_write_b32 v2, v3 offset:1024
	s_branch .LBB7_89
.LBB7_94:
	s_or_b64 exec, exec, s[0:1]
	s_cmp_gt_u32 s35, s34
	s_cselect_b64 s[0:1], -1, 0
	s_cmp_le_u32 s35, s34
	s_waitcnt lgkmcnt(0)
	s_barrier
	s_cbranch_scc1 .LBB7_119
; %bb.95:
	v_mov_b32_e32 v3, 0x7fff
	s_waitcnt vmcnt(1)
	v_cmp_gt_i16_e32 vcc, 0, v15
	v_cndmask_b32_e64 v16, v3, 0, vcc
	v_and_b32_e32 v2, 3, v0
	v_xor_b32_e32 v16, v16, v15
	s_movk_i32 s2, 0x8000
	v_cmp_ne_u16_e32 vcc, s2, v16
	v_lshlrev_b32_e32 v2, 2, v2
	s_sub_i32 s2, s35, s34
	v_cndmask_b32_e32 v3, v3, v16, vcc
	v_mov_b32_e32 v16, 1
	s_mov_b32 s3, s2
	v_mov_b32_e32 v17, v2
	s_mov_b32 s4, s34
.LBB7_96:                               ; =>This Inner Loop Header: Depth=1
	s_min_u32 s5, s3, 8
	v_lshrrev_b32_sdwa v18, s4, v3 dst_sel:DWORD dst_unused:UNUSED_PAD src0_sel:DWORD src1_sel:WORD_0
	v_bfe_u32 v18, v18, 0, s5
	v_lshl_add_u32 v18, v18, 4, v17
	ds_add_u32 v18, v16
	s_add_i32 s4, s4, 8
	s_add_i32 s3, s3, -8
	s_cmp_ge_u32 s4, s35
	v_add_u32_e32 v17, 0x1000, v17
	s_cbranch_scc0 .LBB7_96
; %bb.97:
	v_mov_b32_e32 v3, 0x7fff
	v_cmp_gt_i16_e32 vcc, 0, v14
	v_cndmask_b32_e64 v16, v3, 0, vcc
	v_xor_b32_e32 v16, v16, v14
	s_movk_i32 s3, 0x8000
	v_cmp_ne_u16_e32 vcc, s3, v16
	v_cndmask_b32_e32 v3, v3, v16, vcc
	v_mov_b32_e32 v16, 1
	s_mov_b32 s3, s2
	v_mov_b32_e32 v17, v2
	s_mov_b32 s4, s34
.LBB7_98:                               ; =>This Inner Loop Header: Depth=1
	s_min_u32 s5, s3, 8
	v_lshrrev_b32_sdwa v18, s4, v3 dst_sel:DWORD dst_unused:UNUSED_PAD src0_sel:DWORD src1_sel:WORD_0
	v_bfe_u32 v18, v18, 0, s5
	v_lshl_add_u32 v18, v18, 4, v17
	ds_add_u32 v18, v16
	s_add_i32 s4, s4, 8
	s_add_i32 s3, s3, -8
	s_cmp_lt_u32 s4, s35
	v_add_u32_e32 v17, 0x1000, v17
	s_cbranch_scc1 .LBB7_98
; %bb.99:
	v_mov_b32_e32 v3, 0x7fff
	v_cmp_gt_i16_e32 vcc, 0, v13
	v_cndmask_b32_e64 v16, v3, 0, vcc
	v_xor_b32_e32 v16, v16, v13
	s_movk_i32 s3, 0x8000
	v_cmp_ne_u16_e32 vcc, s3, v16
	v_cndmask_b32_e32 v3, v3, v16, vcc
	v_mov_b32_e32 v16, 1
	s_mov_b32 s3, s2
	v_mov_b32_e32 v17, v2
	s_mov_b32 s4, s34
.LBB7_100:                              ; =>This Inner Loop Header: Depth=1
	s_min_u32 s5, s3, 8
	v_lshrrev_b32_sdwa v18, s4, v3 dst_sel:DWORD dst_unused:UNUSED_PAD src0_sel:DWORD src1_sel:WORD_0
	v_bfe_u32 v18, v18, 0, s5
	v_lshl_add_u32 v18, v18, 4, v17
	ds_add_u32 v18, v16
	s_add_i32 s4, s4, 8
	s_add_i32 s3, s3, -8
	s_cmp_lt_u32 s4, s35
	v_add_u32_e32 v17, 0x1000, v17
	s_cbranch_scc1 .LBB7_100
; %bb.101:
	v_mov_b32_e32 v3, 0x7fff
	v_cmp_gt_i16_e32 vcc, 0, v12
	v_cndmask_b32_e64 v16, v3, 0, vcc
	v_xor_b32_e32 v16, v16, v12
	s_movk_i32 s3, 0x8000
	v_cmp_ne_u16_e32 vcc, s3, v16
	v_cndmask_b32_e32 v3, v3, v16, vcc
	v_mov_b32_e32 v16, 1
	s_mov_b32 s3, s2
	v_mov_b32_e32 v17, v2
	s_mov_b32 s4, s34
.LBB7_102:                              ; =>This Inner Loop Header: Depth=1
	s_min_u32 s5, s3, 8
	v_lshrrev_b32_sdwa v18, s4, v3 dst_sel:DWORD dst_unused:UNUSED_PAD src0_sel:DWORD src1_sel:WORD_0
	v_bfe_u32 v18, v18, 0, s5
	v_lshl_add_u32 v18, v18, 4, v17
	ds_add_u32 v18, v16
	s_add_i32 s4, s4, 8
	s_add_i32 s3, s3, -8
	s_cmp_lt_u32 s4, s35
	v_add_u32_e32 v17, 0x1000, v17
	s_cbranch_scc1 .LBB7_102
	;; [unrolled: 23-line block ×9, first 2 shown]
; %bb.117:
	v_mov_b32_e32 v3, 0x7fff
	s_waitcnt vmcnt(0)
	v_cmp_gt_i16_e32 vcc, 0, v4
	v_cndmask_b32_e64 v16, v3, 0, vcc
	v_xor_b32_e32 v16, v16, v4
	s_movk_i32 s3, 0x8000
	v_cmp_ne_u16_e32 vcc, s3, v16
	v_cndmask_b32_e32 v3, v3, v16, vcc
	v_mov_b32_e32 v16, 1
	s_mov_b32 s3, s34
.LBB7_118:                              ; =>This Inner Loop Header: Depth=1
	s_min_u32 s4, s2, 8
	v_lshrrev_b32_sdwa v17, s3, v3 dst_sel:DWORD dst_unused:UNUSED_PAD src0_sel:DWORD src1_sel:WORD_0
	v_bfe_u32 v17, v17, 0, s4
	v_lshl_add_u32 v17, v17, 4, v2
	ds_add_u32 v17, v16
	s_add_i32 s3, s3, 8
	s_add_i32 s2, s2, -8
	s_cmp_lt_u32 s3, s35
	v_add_u32_e32 v2, 0x1000, v2
	s_cbranch_scc1 .LBB7_118
.LBB7_119:
	s_and_b64 vcc, exec, s[0:1]
	s_waitcnt lgkmcnt(0)
	s_barrier
	s_cbranch_vccz .LBB7_124
; %bb.120:
	s_movk_i32 s0, 0x100
	v_cmp_gt_u32_e32 vcc, s0, v0
	v_lshlrev_b32_e32 v16, 4, v0
	v_mov_b32_e32 v3, 0
	v_mov_b32_e32 v2, v0
	s_branch .LBB7_122
.LBB7_121:                              ;   in Loop: Header=BB7_122 Depth=1
	s_or_b64 exec, exec, s[2:3]
	s_add_i32 s34, s34, 8
	v_add_u32_e32 v2, 0x100, v2
	s_cmp_ge_u32 s34, s35
	v_add_u32_e32 v16, 0x1000, v16
	s_cbranch_scc1 .LBB7_124
.LBB7_122:                              ; =>This Inner Loop Header: Depth=1
	s_and_saveexec_b64 s[2:3], vcc
	s_cbranch_execz .LBB7_121
; %bb.123:                              ;   in Loop: Header=BB7_122 Depth=1
	ds_read2_b32 v[18:19], v16 offset1:1
	ds_read2_b32 v[20:21], v16 offset0:2 offset1:3
	v_lshlrev_b64 v[22:23], 3, v[2:3]
	v_mov_b32_e32 v17, s27
	s_waitcnt lgkmcnt(1)
	v_add_u32_e32 v18, v19, v18
	s_waitcnt lgkmcnt(0)
	v_add3_u32 v18, v18, v20, v21
	v_add_co_u32_e64 v20, s[0:1], s26, v22
	v_addc_co_u32_e64 v21, s[0:1], v17, v23, s[0:1]
	v_mov_b32_e32 v19, v3
	global_atomic_add_x2 v[20:21], v[18:19], off
	s_branch .LBB7_121
.LBB7_124:
	s_mov_b64 s[0:1], 0
.LBB7_125:
	s_and_b64 vcc, exec, s[0:1]
	s_cbranch_vccz .LBB7_134
; %bb.126:
	s_mov_b32 s6, 0
	s_mov_b64 s[0:1], 0
	v_mov_b32_e32 v2, 0
	v_mov_b32_e32 v3, v1
	s_branch .LBB7_128
.LBB7_127:                              ;   in Loop: Header=BB7_128 Depth=1
	s_or_b64 exec, exec, s[4:5]
	s_add_i32 s6, s6, 2
	v_cmp_eq_u32_e64 s[2:3], 8, s6
	s_or_b64 s[0:1], s[2:3], s[0:1]
	v_add_u32_e32 v3, 0x800, v3
	s_andn2_b64 exec, exec, s[0:1]
	s_cbranch_execz .LBB7_132
.LBB7_128:                              ; =>This Inner Loop Header: Depth=1
	s_or_b32 s2, s6, 1
	v_cmp_le_u32_e64 s[2:3], s2, 7
	v_cmp_le_u32_e64 s[8:9], s6, 7
	s_and_saveexec_b64 s[4:5], s[8:9]
	s_cbranch_execz .LBB7_130
; %bb.129:                              ;   in Loop: Header=BB7_128 Depth=1
	ds_write_b32 v3, v2
.LBB7_130:                              ;   in Loop: Header=BB7_128 Depth=1
	s_or_b64 exec, exec, s[4:5]
	s_and_saveexec_b64 s[4:5], s[2:3]
	s_cbranch_execz .LBB7_127
; %bb.131:                              ;   in Loop: Header=BB7_128 Depth=1
	ds_write_b32 v3, v2 offset:1024
	s_branch .LBB7_127
.LBB7_132:
	s_or_b64 exec, exec, s[0:1]
	v_mov_b32_e32 v2, 0x7fff
	s_waitcnt vmcnt(1)
	v_cmp_gt_i16_e32 vcc, 0, v15
	v_cndmask_b32_e64 v3, v2, 0, vcc
	v_cmp_gt_i16_e32 vcc, 0, v14
	v_xor_b32_e32 v3, v3, v15
	v_cndmask_b32_e64 v15, v2, 0, vcc
	v_cmp_gt_i16_e32 vcc, 0, v13
	v_xor_b32_e32 v14, v15, v14
	;; [unrolled: 3-line block ×10, first 2 shown]
	v_cndmask_b32_e64 v15, v2, 0, vcc
	s_waitcnt vmcnt(0)
	v_cmp_gt_i16_e32 vcc, 0, v4
	s_movk_i32 s0, 0x8000
	v_xor_b32_e32 v5, v15, v5
	v_cndmask_b32_e64 v15, v2, 0, vcc
	v_cmp_ne_u16_e32 vcc, s0, v3
	v_cndmask_b32_e32 v3, v2, v3, vcc
	v_and_b32_e32 v3, 0xffff, v3
	v_xor_b32_e32 v4, v15, v4
	v_and_b32_e32 v15, 3, v0
	v_lshlrev_b32_e32 v16, 2, v3
	s_movk_i32 s1, 0x3fc
	v_and_or_b32 v16, v16, s1, v15
	v_bfe_u32 v3, v3, 8, 8
	v_lshlrev_b32_e32 v16, 2, v16
	v_mov_b32_e32 v17, 1
	v_lshl_or_b32 v3, v3, 2, v15
	s_waitcnt lgkmcnt(0)
	s_barrier
	ds_add_u32 v16, v17
	v_lshlrev_b32_e32 v3, 2, v3
	v_cmp_ne_u16_e32 vcc, s0, v14
	ds_add_u32 v3, v17 offset:4096
	v_cndmask_b32_e32 v3, v2, v14, vcc
	v_and_b32_e32 v3, 0xffff, v3
	v_lshlrev_b32_e32 v14, 2, v3
	v_and_or_b32 v14, v14, s1, v15
	v_bfe_u32 v3, v3, 8, 8
	v_lshlrev_b32_e32 v14, 2, v14
	v_lshl_or_b32 v3, v3, 2, v15
	ds_add_u32 v14, v17
	v_lshlrev_b32_e32 v3, 2, v3
	v_cmp_ne_u16_e32 vcc, s0, v13
	ds_add_u32 v3, v17 offset:4096
	v_cndmask_b32_e32 v3, v2, v13, vcc
	v_and_b32_e32 v3, 0xffff, v3
	v_lshlrev_b32_e32 v13, 2, v3
	v_and_or_b32 v13, v13, s1, v15
	v_bfe_u32 v3, v3, 8, 8
	v_lshlrev_b32_e32 v13, 2, v13
	v_lshl_or_b32 v3, v3, 2, v15
	;; [unrolled: 11-line block ×9, first 2 shown]
	ds_add_u32 v6, v17
	v_lshlrev_b32_e32 v3, 2, v3
	v_cmp_ne_u16_e32 vcc, s0, v5
	ds_add_u32 v3, v17 offset:4096
	v_cndmask_b32_e32 v3, v2, v5, vcc
	v_and_b32_e32 v3, 0xffff, v3
	v_lshlrev_b32_e32 v5, 2, v3
	v_and_or_b32 v5, v5, s1, v15
	v_bfe_u32 v3, v3, 8, 8
	v_cmp_ne_u16_e32 vcc, s0, v4
	v_lshlrev_b32_e32 v5, 2, v5
	v_lshl_or_b32 v3, v3, 2, v15
	v_cndmask_b32_e32 v2, v2, v4, vcc
	ds_add_u32 v5, v17
	v_lshlrev_b32_e32 v3, 2, v3
	v_and_b32_e32 v2, 0xffff, v2
	ds_add_u32 v3, v17 offset:4096
	v_lshlrev_b32_e32 v3, 2, v2
	v_and_or_b32 v3, v3, s1, v15
	v_bfe_u32 v2, v2, 8, 8
	v_lshlrev_b32_e32 v3, 2, v3
	v_lshl_or_b32 v2, v2, 2, v15
	ds_add_u32 v3, v17
	v_lshlrev_b32_e32 v2, 2, v2
	ds_add_u32 v2, v17 offset:4096
	s_movk_i32 s0, 0x100
	v_cmp_gt_u32_e32 vcc, s0, v0
	s_waitcnt lgkmcnt(0)
	s_barrier
	s_and_saveexec_b64 s[0:1], vcc
	s_cbranch_execz .LBB7_134
; %bb.133:
	v_lshlrev_b32_e32 v6, 2, v1
	ds_read2_b32 v[2:3], v6 offset1:1
	ds_read2_b32 v[4:5], v6 offset0:2 offset1:3
	v_lshlrev_b32_e32 v7, 3, v0
	v_mov_b32_e32 v1, 0
	v_or_b32_e32 v8, 0x1000, v6
	s_waitcnt lgkmcnt(1)
	v_add_u32_e32 v0, v3, v2
	s_waitcnt lgkmcnt(0)
	v_add3_u32 v0, v0, v4, v5
	global_atomic_add_x2 v7, v[0:1], s[26:27]
	v_add_u32_e32 v0, 0x1008, v6
	ds_read2_b32 v[2:3], v8 offset1:1
	ds_read2_b32 v[4:5], v0 offset1:1
	s_waitcnt lgkmcnt(1)
	v_add_u32_e32 v0, v3, v2
	s_waitcnt lgkmcnt(0)
	v_add3_u32 v0, v0, v4, v5
	global_atomic_add_x2 v7, v[0:1], s[26:27] offset:2048
.LBB7_134:
	s_endpgm
	.section	.rodata,"a",@progbits
	.p2align	6, 0x0
	.amdhsa_kernel _ZN7rocprim17ROCPRIM_304000_NS6detail26onesweep_histograms_kernelINS1_34wrapped_radix_sort_onesweep_configINS0_14default_configE12hip_bfloat16N2at4cuda3cub6detail10OpaqueTypeILi8EEEEELb1EPKS5_mNS0_19identity_decomposerEEEvT1_PT2_SH_SH_T3_jj
		.amdhsa_group_segment_fixed_size 8192
		.amdhsa_private_segment_fixed_size 0
		.amdhsa_kernarg_size 44
		.amdhsa_user_sgpr_count 6
		.amdhsa_user_sgpr_private_segment_buffer 1
		.amdhsa_user_sgpr_dispatch_ptr 0
		.amdhsa_user_sgpr_queue_ptr 0
		.amdhsa_user_sgpr_kernarg_segment_ptr 1
		.amdhsa_user_sgpr_dispatch_id 0
		.amdhsa_user_sgpr_flat_scratch_init 0
		.amdhsa_user_sgpr_kernarg_preload_length 0
		.amdhsa_user_sgpr_kernarg_preload_offset 0
		.amdhsa_user_sgpr_private_segment_size 0
		.amdhsa_uses_dynamic_stack 0
		.amdhsa_system_sgpr_private_segment_wavefront_offset 0
		.amdhsa_system_sgpr_workgroup_id_x 1
		.amdhsa_system_sgpr_workgroup_id_y 0
		.amdhsa_system_sgpr_workgroup_id_z 0
		.amdhsa_system_sgpr_workgroup_info 0
		.amdhsa_system_vgpr_workitem_id 0
		.amdhsa_next_free_vgpr 24
		.amdhsa_next_free_sgpr 40
		.amdhsa_accum_offset 24
		.amdhsa_reserve_vcc 1
		.amdhsa_reserve_flat_scratch 0
		.amdhsa_float_round_mode_32 0
		.amdhsa_float_round_mode_16_64 0
		.amdhsa_float_denorm_mode_32 3
		.amdhsa_float_denorm_mode_16_64 3
		.amdhsa_dx10_clamp 1
		.amdhsa_ieee_mode 1
		.amdhsa_fp16_overflow 0
		.amdhsa_tg_split 0
		.amdhsa_exception_fp_ieee_invalid_op 0
		.amdhsa_exception_fp_denorm_src 0
		.amdhsa_exception_fp_ieee_div_zero 0
		.amdhsa_exception_fp_ieee_overflow 0
		.amdhsa_exception_fp_ieee_underflow 0
		.amdhsa_exception_fp_ieee_inexact 0
		.amdhsa_exception_int_div_zero 0
	.end_amdhsa_kernel
	.section	.text._ZN7rocprim17ROCPRIM_304000_NS6detail26onesweep_histograms_kernelINS1_34wrapped_radix_sort_onesweep_configINS0_14default_configE12hip_bfloat16N2at4cuda3cub6detail10OpaqueTypeILi8EEEEELb1EPKS5_mNS0_19identity_decomposerEEEvT1_PT2_SH_SH_T3_jj,"axG",@progbits,_ZN7rocprim17ROCPRIM_304000_NS6detail26onesweep_histograms_kernelINS1_34wrapped_radix_sort_onesweep_configINS0_14default_configE12hip_bfloat16N2at4cuda3cub6detail10OpaqueTypeILi8EEEEELb1EPKS5_mNS0_19identity_decomposerEEEvT1_PT2_SH_SH_T3_jj,comdat
.Lfunc_end7:
	.size	_ZN7rocprim17ROCPRIM_304000_NS6detail26onesweep_histograms_kernelINS1_34wrapped_radix_sort_onesweep_configINS0_14default_configE12hip_bfloat16N2at4cuda3cub6detail10OpaqueTypeILi8EEEEELb1EPKS5_mNS0_19identity_decomposerEEEvT1_PT2_SH_SH_T3_jj, .Lfunc_end7-_ZN7rocprim17ROCPRIM_304000_NS6detail26onesweep_histograms_kernelINS1_34wrapped_radix_sort_onesweep_configINS0_14default_configE12hip_bfloat16N2at4cuda3cub6detail10OpaqueTypeILi8EEEEELb1EPKS5_mNS0_19identity_decomposerEEEvT1_PT2_SH_SH_T3_jj
                                        ; -- End function
	.section	.AMDGPU.csdata,"",@progbits
; Kernel info:
; codeLenInByte = 5628
; NumSgprs: 44
; NumVgprs: 24
; NumAgprs: 0
; TotalNumVgprs: 24
; ScratchSize: 0
; MemoryBound: 0
; FloatMode: 240
; IeeeMode: 1
; LDSByteSize: 8192 bytes/workgroup (compile time only)
; SGPRBlocks: 5
; VGPRBlocks: 2
; NumSGPRsForWavesPerEU: 44
; NumVGPRsForWavesPerEU: 24
; AccumOffset: 24
; Occupancy: 8
; WaveLimiterHint : 1
; COMPUTE_PGM_RSRC2:SCRATCH_EN: 0
; COMPUTE_PGM_RSRC2:USER_SGPR: 6
; COMPUTE_PGM_RSRC2:TRAP_HANDLER: 0
; COMPUTE_PGM_RSRC2:TGID_X_EN: 1
; COMPUTE_PGM_RSRC2:TGID_Y_EN: 0
; COMPUTE_PGM_RSRC2:TGID_Z_EN: 0
; COMPUTE_PGM_RSRC2:TIDIG_COMP_CNT: 0
; COMPUTE_PGM_RSRC3_GFX90A:ACCUM_OFFSET: 5
; COMPUTE_PGM_RSRC3_GFX90A:TG_SPLIT: 0
	.section	.text._ZN7rocprim17ROCPRIM_304000_NS6detail31onesweep_scan_histograms_kernelINS1_34wrapped_radix_sort_onesweep_configINS0_14default_configE12hip_bfloat16N2at4cuda3cub6detail10OpaqueTypeILi8EEEEEmEEvPT0_,"axG",@progbits,_ZN7rocprim17ROCPRIM_304000_NS6detail31onesweep_scan_histograms_kernelINS1_34wrapped_radix_sort_onesweep_configINS0_14default_configE12hip_bfloat16N2at4cuda3cub6detail10OpaqueTypeILi8EEEEEmEEvPT0_,comdat
	.protected	_ZN7rocprim17ROCPRIM_304000_NS6detail31onesweep_scan_histograms_kernelINS1_34wrapped_radix_sort_onesweep_configINS0_14default_configE12hip_bfloat16N2at4cuda3cub6detail10OpaqueTypeILi8EEEEEmEEvPT0_ ; -- Begin function _ZN7rocprim17ROCPRIM_304000_NS6detail31onesweep_scan_histograms_kernelINS1_34wrapped_radix_sort_onesweep_configINS0_14default_configE12hip_bfloat16N2at4cuda3cub6detail10OpaqueTypeILi8EEEEEmEEvPT0_
	.globl	_ZN7rocprim17ROCPRIM_304000_NS6detail31onesweep_scan_histograms_kernelINS1_34wrapped_radix_sort_onesweep_configINS0_14default_configE12hip_bfloat16N2at4cuda3cub6detail10OpaqueTypeILi8EEEEEmEEvPT0_
	.p2align	8
	.type	_ZN7rocprim17ROCPRIM_304000_NS6detail31onesweep_scan_histograms_kernelINS1_34wrapped_radix_sort_onesweep_configINS0_14default_configE12hip_bfloat16N2at4cuda3cub6detail10OpaqueTypeILi8EEEEEmEEvPT0_,@function
_ZN7rocprim17ROCPRIM_304000_NS6detail31onesweep_scan_histograms_kernelINS1_34wrapped_radix_sort_onesweep_configINS0_14default_configE12hip_bfloat16N2at4cuda3cub6detail10OpaqueTypeILi8EEEEEmEEvPT0_: ; @_ZN7rocprim17ROCPRIM_304000_NS6detail31onesweep_scan_histograms_kernelINS1_34wrapped_radix_sort_onesweep_configINS0_14default_configE12hip_bfloat16N2at4cuda3cub6detail10OpaqueTypeILi8EEEEEmEEvPT0_
; %bb.0:
	s_load_dwordx2 s[0:1], s[4:5], 0x0
	s_lshl_b32 s2, s6, 8
	s_mov_b32 s3, 0
	s_lshl_b64 s[2:3], s[2:3], 3
	v_lshlrev_b32_e32 v5, 3, v0
	s_waitcnt lgkmcnt(0)
	s_add_u32 s6, s0, s2
	s_movk_i32 s0, 0x100
	s_addc_u32 s7, s1, s3
	v_cmp_gt_u32_e32 vcc, s0, v0
                                        ; implicit-def: $vgpr2_vgpr3
	s_and_saveexec_b64 s[0:1], vcc
	s_cbranch_execz .LBB8_2
; %bb.1:
	global_load_dwordx2 v[2:3], v5, s[6:7]
.LBB8_2:
	s_or_b64 exec, exec, s[0:1]
	s_waitcnt vmcnt(0)
	v_mov_b32_dpp v4, v2 row_shr:1 row_mask:0xf bank_mask:0xf
	v_add_co_u32_e64 v4, s[0:1], v2, v4
	v_mbcnt_lo_u32_b32 v1, -1, 0
	v_addc_co_u32_e64 v8, s[0:1], 0, v3, s[0:1]
	v_mbcnt_hi_u32_b32 v6, -1, v1
	v_mov_b32_dpp v7, v3 row_shr:1 row_mask:0xf bank_mask:0xf
	v_add_co_u32_e64 v9, s[0:1], 0, v4
	v_and_b32_e32 v1, 15, v6
	v_addc_co_u32_e64 v7, s[0:1], v7, v8, s[0:1]
	v_cmp_eq_u32_e64 s[0:1], 0, v1
	v_cndmask_b32_e64 v4, v4, v2, s[0:1]
	v_cndmask_b32_e64 v7, v7, v3, s[0:1]
	v_cndmask_b32_e64 v8, v9, v2, s[0:1]
	v_mov_b32_dpp v9, v4 row_shr:2 row_mask:0xf bank_mask:0xf
	v_mov_b32_dpp v10, v7 row_shr:2 row_mask:0xf bank_mask:0xf
	v_add_co_u32_e64 v9, s[0:1], v9, v8
	v_addc_co_u32_e64 v10, s[0:1], v10, v7, s[0:1]
	v_cmp_lt_u32_e64 s[0:1], 1, v1
	v_cndmask_b32_e64 v4, v4, v9, s[0:1]
	v_cndmask_b32_e64 v7, v7, v10, s[0:1]
	v_cndmask_b32_e64 v8, v8, v9, s[0:1]
	v_mov_b32_dpp v9, v4 row_shr:4 row_mask:0xf bank_mask:0xf
	v_mov_b32_dpp v10, v7 row_shr:4 row_mask:0xf bank_mask:0xf
	v_add_co_u32_e64 v9, s[0:1], v9, v8
	v_addc_co_u32_e64 v10, s[0:1], v10, v7, s[0:1]
	v_cmp_lt_u32_e64 s[0:1], 3, v1
	;; [unrolled: 8-line block ×3, first 2 shown]
	v_cndmask_b32_e64 v11, v4, v9, s[0:1]
	v_cndmask_b32_e64 v1, v7, v10, s[0:1]
	;; [unrolled: 1-line block ×3, first 2 shown]
	v_mov_b32_dpp v7, v11 row_bcast:15 row_mask:0xf bank_mask:0xf
	v_mov_b32_dpp v8, v1 row_bcast:15 row_mask:0xf bank_mask:0xf
	v_and_b32_e32 v10, 16, v6
	v_add_co_u32_e64 v7, s[0:1], v7, v4
	v_addc_co_u32_e64 v9, s[0:1], v8, v1, s[0:1]
	v_cmp_eq_u32_e64 s[2:3], 0, v10
	v_cndmask_b32_e64 v10, v9, v1, s[2:3]
	v_cndmask_b32_e64 v8, v7, v11, s[2:3]
	v_cmp_eq_u32_e64 s[0:1], 0, v6
	v_mov_b32_dpp v10, v10 row_bcast:31 row_mask:0xf bank_mask:0xf
	v_mov_b32_dpp v8, v8 row_bcast:31 row_mask:0xf bank_mask:0xf
	v_cmp_ne_u32_e64 s[4:5], 0, v6
	s_and_saveexec_b64 s[8:9], s[4:5]
; %bb.3:
	v_cndmask_b32_e64 v1, v9, v1, s[2:3]
	v_cndmask_b32_e64 v2, v7, v4, s[2:3]
	v_cmp_lt_u32_e64 s[2:3], 31, v6
	v_cndmask_b32_e64 v4, 0, v8, s[2:3]
	v_cndmask_b32_e64 v3, 0, v10, s[2:3]
	v_add_co_u32_e64 v2, s[2:3], v4, v2
	v_addc_co_u32_e64 v3, s[2:3], v3, v1, s[2:3]
; %bb.4:
	s_or_b64 exec, exec, s[8:9]
	v_or_b32_e32 v1, 63, v0
	v_lshrrev_b32_e32 v4, 6, v0
	v_cmp_eq_u32_e64 s[2:3], v1, v0
	s_and_saveexec_b64 s[4:5], s[2:3]
	s_cbranch_execz .LBB8_6
; %bb.5:
	v_lshlrev_b32_e32 v1, 3, v4
	ds_write_b64 v1, v[2:3]
.LBB8_6:
	s_or_b64 exec, exec, s[4:5]
	v_cmp_gt_u32_e64 s[2:3], 4, v0
	s_waitcnt lgkmcnt(0)
	s_barrier
	s_and_saveexec_b64 s[4:5], s[2:3]
	s_cbranch_execz .LBB8_8
; %bb.7:
	ds_read_b64 v[8:9], v5
	v_and_b32_e32 v1, 3, v6
	s_waitcnt lgkmcnt(0)
	v_mov_b32_dpp v7, v8 row_shr:1 row_mask:0xf bank_mask:0xf
	v_add_co_u32_e64 v7, s[2:3], v8, v7
	v_addc_co_u32_e64 v11, s[2:3], 0, v9, s[2:3]
	v_mov_b32_dpp v10, v9 row_shr:1 row_mask:0xf bank_mask:0xf
	v_add_co_u32_e64 v12, s[2:3], 0, v7
	v_addc_co_u32_e64 v10, s[2:3], v10, v11, s[2:3]
	v_cmp_eq_u32_e64 s[2:3], 0, v1
	v_cndmask_b32_e64 v7, v7, v8, s[2:3]
	v_cndmask_b32_e64 v9, v10, v9, s[2:3]
	;; [unrolled: 1-line block ×3, first 2 shown]
	v_mov_b32_dpp v7, v7 row_shr:2 row_mask:0xf bank_mask:0xf
	v_cmp_lt_u32_e64 s[2:3], 1, v1
	v_mov_b32_dpp v8, v9 row_shr:2 row_mask:0xf bank_mask:0xf
	v_cndmask_b32_e64 v1, 0, v7, s[2:3]
	v_cndmask_b32_e64 v7, 0, v8, s[2:3]
	v_add_co_u32_e64 v8, s[2:3], v1, v10
	v_addc_co_u32_e64 v9, s[2:3], v7, v9, s[2:3]
	ds_write_b64 v5, v[8:9]
.LBB8_8:
	s_or_b64 exec, exec, s[4:5]
	v_cmp_lt_u32_e64 s[2:3], 63, v0
	v_pk_mov_b32 v[0:1], 0, 0
	s_waitcnt lgkmcnt(0)
	s_barrier
	s_and_saveexec_b64 s[4:5], s[2:3]
	s_cbranch_execz .LBB8_10
; %bb.9:
	v_lshl_add_u32 v0, v4, 3, -8
	ds_read_b64 v[0:1], v0
.LBB8_10:
	s_or_b64 exec, exec, s[4:5]
	s_waitcnt lgkmcnt(0)
	v_add_co_u32_e64 v2, s[2:3], v0, v2
	v_addc_co_u32_e64 v3, s[2:3], v1, v3, s[2:3]
	v_add_u32_e32 v4, -1, v6
	v_and_b32_e32 v7, 64, v6
	v_cmp_lt_i32_e64 s[2:3], v4, v7
	v_cndmask_b32_e64 v4, v4, v6, s[2:3]
	v_lshlrev_b32_e32 v4, 2, v4
	ds_bpermute_b32 v2, v4, v2
	ds_bpermute_b32 v3, v4, v3
	s_and_saveexec_b64 s[2:3], vcc
	s_cbranch_execz .LBB8_12
; %bb.11:
	s_waitcnt lgkmcnt(0)
	v_cndmask_b32_e64 v1, v3, v1, s[0:1]
	v_cndmask_b32_e64 v0, v2, v0, s[0:1]
	global_store_dwordx2 v5, v[0:1], s[6:7]
.LBB8_12:
	s_endpgm
	.section	.rodata,"a",@progbits
	.p2align	6, 0x0
	.amdhsa_kernel _ZN7rocprim17ROCPRIM_304000_NS6detail31onesweep_scan_histograms_kernelINS1_34wrapped_radix_sort_onesweep_configINS0_14default_configE12hip_bfloat16N2at4cuda3cub6detail10OpaqueTypeILi8EEEEEmEEvPT0_
		.amdhsa_group_segment_fixed_size 32
		.amdhsa_private_segment_fixed_size 0
		.amdhsa_kernarg_size 8
		.amdhsa_user_sgpr_count 6
		.amdhsa_user_sgpr_private_segment_buffer 1
		.amdhsa_user_sgpr_dispatch_ptr 0
		.amdhsa_user_sgpr_queue_ptr 0
		.amdhsa_user_sgpr_kernarg_segment_ptr 1
		.amdhsa_user_sgpr_dispatch_id 0
		.amdhsa_user_sgpr_flat_scratch_init 0
		.amdhsa_user_sgpr_kernarg_preload_length 0
		.amdhsa_user_sgpr_kernarg_preload_offset 0
		.amdhsa_user_sgpr_private_segment_size 0
		.amdhsa_uses_dynamic_stack 0
		.amdhsa_system_sgpr_private_segment_wavefront_offset 0
		.amdhsa_system_sgpr_workgroup_id_x 1
		.amdhsa_system_sgpr_workgroup_id_y 0
		.amdhsa_system_sgpr_workgroup_id_z 0
		.amdhsa_system_sgpr_workgroup_info 0
		.amdhsa_system_vgpr_workitem_id 0
		.amdhsa_next_free_vgpr 13
		.amdhsa_next_free_sgpr 10
		.amdhsa_accum_offset 16
		.amdhsa_reserve_vcc 1
		.amdhsa_reserve_flat_scratch 0
		.amdhsa_float_round_mode_32 0
		.amdhsa_float_round_mode_16_64 0
		.amdhsa_float_denorm_mode_32 3
		.amdhsa_float_denorm_mode_16_64 3
		.amdhsa_dx10_clamp 1
		.amdhsa_ieee_mode 1
		.amdhsa_fp16_overflow 0
		.amdhsa_tg_split 0
		.amdhsa_exception_fp_ieee_invalid_op 0
		.amdhsa_exception_fp_denorm_src 0
		.amdhsa_exception_fp_ieee_div_zero 0
		.amdhsa_exception_fp_ieee_overflow 0
		.amdhsa_exception_fp_ieee_underflow 0
		.amdhsa_exception_fp_ieee_inexact 0
		.amdhsa_exception_int_div_zero 0
	.end_amdhsa_kernel
	.section	.text._ZN7rocprim17ROCPRIM_304000_NS6detail31onesweep_scan_histograms_kernelINS1_34wrapped_radix_sort_onesweep_configINS0_14default_configE12hip_bfloat16N2at4cuda3cub6detail10OpaqueTypeILi8EEEEEmEEvPT0_,"axG",@progbits,_ZN7rocprim17ROCPRIM_304000_NS6detail31onesweep_scan_histograms_kernelINS1_34wrapped_radix_sort_onesweep_configINS0_14default_configE12hip_bfloat16N2at4cuda3cub6detail10OpaqueTypeILi8EEEEEmEEvPT0_,comdat
.Lfunc_end8:
	.size	_ZN7rocprim17ROCPRIM_304000_NS6detail31onesweep_scan_histograms_kernelINS1_34wrapped_radix_sort_onesweep_configINS0_14default_configE12hip_bfloat16N2at4cuda3cub6detail10OpaqueTypeILi8EEEEEmEEvPT0_, .Lfunc_end8-_ZN7rocprim17ROCPRIM_304000_NS6detail31onesweep_scan_histograms_kernelINS1_34wrapped_radix_sort_onesweep_configINS0_14default_configE12hip_bfloat16N2at4cuda3cub6detail10OpaqueTypeILi8EEEEEmEEvPT0_
                                        ; -- End function
	.section	.AMDGPU.csdata,"",@progbits
; Kernel info:
; codeLenInByte = 900
; NumSgprs: 14
; NumVgprs: 13
; NumAgprs: 0
; TotalNumVgprs: 13
; ScratchSize: 0
; MemoryBound: 0
; FloatMode: 240
; IeeeMode: 1
; LDSByteSize: 32 bytes/workgroup (compile time only)
; SGPRBlocks: 1
; VGPRBlocks: 1
; NumSGPRsForWavesPerEU: 14
; NumVGPRsForWavesPerEU: 13
; AccumOffset: 16
; Occupancy: 8
; WaveLimiterHint : 0
; COMPUTE_PGM_RSRC2:SCRATCH_EN: 0
; COMPUTE_PGM_RSRC2:USER_SGPR: 6
; COMPUTE_PGM_RSRC2:TRAP_HANDLER: 0
; COMPUTE_PGM_RSRC2:TGID_X_EN: 1
; COMPUTE_PGM_RSRC2:TGID_Y_EN: 0
; COMPUTE_PGM_RSRC2:TGID_Z_EN: 0
; COMPUTE_PGM_RSRC2:TIDIG_COMP_CNT: 0
; COMPUTE_PGM_RSRC3_GFX90A:ACCUM_OFFSET: 3
; COMPUTE_PGM_RSRC3_GFX90A:TG_SPLIT: 0
	.section	.text._ZN7rocprim17ROCPRIM_304000_NS6detail16transform_kernelINS1_24wrapped_transform_configINS0_14default_configE12hip_bfloat16EES5_PKS5_PS5_NS0_8identityIS5_EEEEvT1_mT2_T3_,"axG",@progbits,_ZN7rocprim17ROCPRIM_304000_NS6detail16transform_kernelINS1_24wrapped_transform_configINS0_14default_configE12hip_bfloat16EES5_PKS5_PS5_NS0_8identityIS5_EEEEvT1_mT2_T3_,comdat
	.protected	_ZN7rocprim17ROCPRIM_304000_NS6detail16transform_kernelINS1_24wrapped_transform_configINS0_14default_configE12hip_bfloat16EES5_PKS5_PS5_NS0_8identityIS5_EEEEvT1_mT2_T3_ ; -- Begin function _ZN7rocprim17ROCPRIM_304000_NS6detail16transform_kernelINS1_24wrapped_transform_configINS0_14default_configE12hip_bfloat16EES5_PKS5_PS5_NS0_8identityIS5_EEEEvT1_mT2_T3_
	.globl	_ZN7rocprim17ROCPRIM_304000_NS6detail16transform_kernelINS1_24wrapped_transform_configINS0_14default_configE12hip_bfloat16EES5_PKS5_PS5_NS0_8identityIS5_EEEEvT1_mT2_T3_
	.p2align	8
	.type	_ZN7rocprim17ROCPRIM_304000_NS6detail16transform_kernelINS1_24wrapped_transform_configINS0_14default_configE12hip_bfloat16EES5_PKS5_PS5_NS0_8identityIS5_EEEEvT1_mT2_T3_,@function
_ZN7rocprim17ROCPRIM_304000_NS6detail16transform_kernelINS1_24wrapped_transform_configINS0_14default_configE12hip_bfloat16EES5_PKS5_PS5_NS0_8identityIS5_EEEEvT1_mT2_T3_: ; @_ZN7rocprim17ROCPRIM_304000_NS6detail16transform_kernelINS1_24wrapped_transform_configINS0_14default_configE12hip_bfloat16EES5_PKS5_PS5_NS0_8identityIS5_EEEEvT1_mT2_T3_
; %bb.0:
	s_load_dword s7, s[4:5], 0x20
	s_load_dwordx4 s[0:3], s[4:5], 0x0
	s_load_dwordx2 s[14:15], s[4:5], 0x10
	s_lshl_b32 s4, s6, 9
	s_mov_b32 s5, 0
	s_waitcnt lgkmcnt(0)
	s_add_i32 s7, s7, -1
	s_lshl_b64 s[16:17], s[4:5], 1
	s_add_u32 s0, s0, s16
	s_addc_u32 s1, s1, s17
	v_lshlrev_b32_e32 v4, 1, v0
	v_mov_b32_e32 v1, s1
	v_add_co_u32_e32 v2, vcc, s0, v4
	s_cmp_lg_u32 s6, s7
	v_addc_co_u32_e32 v3, vcc, 0, v1, vcc
	s_cbranch_scc0 .LBB9_2
; %bb.1:
	global_load_ushort v1, v[2:3], off
	global_load_ushort v6, v[2:3], off offset:128
	global_load_ushort v7, v[2:3], off offset:256
	global_load_ushort v8, v[2:3], off offset:384
	global_load_ushort v9, v[2:3], off offset:512
	global_load_ushort v10, v[2:3], off offset:640
	global_load_ushort v11, v[2:3], off offset:768
	global_load_ushort v5, v[2:3], off offset:896
	s_add_u32 s6, s14, s16
	s_addc_u32 s7, s15, s17
	s_mov_b64 s[18:19], -1
	s_waitcnt vmcnt(7)
	global_store_short v4, v1, s[6:7]
	s_waitcnt vmcnt(7)
	global_store_short v4, v6, s[6:7] offset:128
	s_waitcnt vmcnt(7)
	global_store_short v4, v7, s[6:7] offset:256
	;; [unrolled: 2-line block ×6, first 2 shown]
	s_cbranch_execz .LBB9_3
	s_branch .LBB9_28
.LBB9_2:
	s_mov_b64 s[18:19], 0
                                        ; implicit-def: $vgpr5
.LBB9_3:
	s_sub_i32 s18, s2, s4
	v_cmp_gt_u32_e32 vcc, s18, v0
                                        ; implicit-def: $vgpr6
	s_and_saveexec_b64 s[0:1], vcc
	s_cbranch_execz .LBB9_5
; %bb.4:
	global_load_ushort v6, v[2:3], off
.LBB9_5:
	s_or_b64 exec, exec, s[0:1]
	v_or_b32_e32 v1, 64, v0
	v_cmp_gt_u32_e64 s[0:1], s18, v1
                                        ; implicit-def: $vgpr7
	s_and_saveexec_b64 s[2:3], s[0:1]
	s_cbranch_execz .LBB9_7
; %bb.6:
	global_load_ushort v7, v[2:3], off offset:128
.LBB9_7:
	s_or_b64 exec, exec, s[2:3]
	v_or_b32_e32 v1, 0x80, v0
	v_cmp_gt_u32_e64 s[2:3], s18, v1
                                        ; implicit-def: $vgpr8
	s_and_saveexec_b64 s[4:5], s[2:3]
	s_cbranch_execz .LBB9_9
; %bb.8:
	global_load_ushort v8, v[2:3], off offset:256
.LBB9_9:
	s_or_b64 exec, exec, s[4:5]
	v_or_b32_e32 v1, 0xc0, v0
	v_cmp_gt_u32_e64 s[4:5], s18, v1
                                        ; implicit-def: $vgpr9
	s_and_saveexec_b64 s[6:7], s[4:5]
	s_cbranch_execz .LBB9_11
; %bb.10:
	global_load_ushort v9, v[2:3], off offset:384
.LBB9_11:
	s_or_b64 exec, exec, s[6:7]
	v_or_b32_e32 v1, 0x100, v0
	v_cmp_gt_u32_e64 s[6:7], s18, v1
                                        ; implicit-def: $vgpr10
	s_and_saveexec_b64 s[8:9], s[6:7]
	s_cbranch_execz .LBB9_13
; %bb.12:
	global_load_ushort v10, v[2:3], off offset:512
.LBB9_13:
	s_or_b64 exec, exec, s[8:9]
	v_or_b32_e32 v1, 0x140, v0
	v_cmp_gt_u32_e64 s[8:9], s18, v1
                                        ; implicit-def: $vgpr11
	s_and_saveexec_b64 s[10:11], s[8:9]
	s_cbranch_execz .LBB9_15
; %bb.14:
	global_load_ushort v11, v[2:3], off offset:640
.LBB9_15:
	s_or_b64 exec, exec, s[10:11]
	v_or_b32_e32 v1, 0x180, v0
	v_cmp_gt_u32_e64 s[10:11], s18, v1
                                        ; implicit-def: $vgpr12
	s_and_saveexec_b64 s[12:13], s[10:11]
	s_cbranch_execz .LBB9_17
; %bb.16:
	global_load_ushort v12, v[2:3], off offset:768
.LBB9_17:
	s_or_b64 exec, exec, s[12:13]
	v_or_b32_e32 v0, 0x1c0, v0
	v_cmp_gt_u32_e64 s[18:19], s18, v0
                                        ; implicit-def: $vgpr5
	s_and_saveexec_b64 s[12:13], s[18:19]
	s_cbranch_execz .LBB9_19
; %bb.18:
	global_load_ushort v5, v[2:3], off offset:896
.LBB9_19:
	s_or_b64 exec, exec, s[12:13]
	s_add_u32 s12, s14, s16
	s_addc_u32 s13, s15, s17
	v_mov_b32_e32 v1, s13
	v_add_co_u32_e64 v0, s[12:13], s12, v4
	v_addc_co_u32_e64 v1, s[12:13], 0, v1, s[12:13]
	s_and_saveexec_b64 s[12:13], vcc
	s_xor_b64 s[12:13], exec, s[12:13]
	s_cbranch_execnz .LBB9_31
; %bb.20:
	s_or_b64 exec, exec, s[12:13]
	s_and_saveexec_b64 s[12:13], s[0:1]
	s_cbranch_execnz .LBB9_32
.LBB9_21:
	s_or_b64 exec, exec, s[12:13]
	s_and_saveexec_b64 s[0:1], s[2:3]
	s_cbranch_execnz .LBB9_33
.LBB9_22:
	s_or_b64 exec, exec, s[0:1]
	s_and_saveexec_b64 s[0:1], s[4:5]
	s_cbranch_execnz .LBB9_34
.LBB9_23:
	s_or_b64 exec, exec, s[0:1]
	s_and_saveexec_b64 s[0:1], s[6:7]
	s_cbranch_execnz .LBB9_35
.LBB9_24:
	s_or_b64 exec, exec, s[0:1]
	s_and_saveexec_b64 s[0:1], s[8:9]
	s_cbranch_execnz .LBB9_36
.LBB9_25:
	s_or_b64 exec, exec, s[0:1]
	s_and_saveexec_b64 s[0:1], s[10:11]
	s_cbranch_execz .LBB9_27
.LBB9_26:
	s_waitcnt vmcnt(0)
	global_store_short v[0:1], v12, off offset:768
.LBB9_27:
	s_or_b64 exec, exec, s[0:1]
.LBB9_28:
	s_and_saveexec_b64 s[0:1], s[18:19]
	s_cbranch_execnz .LBB9_30
; %bb.29:
	s_endpgm
.LBB9_30:
	s_add_u32 s0, s14, s16
	s_addc_u32 s1, s15, s17
	s_waitcnt vmcnt(0)
	global_store_short v4, v5, s[0:1] offset:896
	s_endpgm
.LBB9_31:
	s_waitcnt vmcnt(0)
	global_store_short v[0:1], v6, off
	s_or_b64 exec, exec, s[12:13]
	s_and_saveexec_b64 s[12:13], s[0:1]
	s_cbranch_execz .LBB9_21
.LBB9_32:
	s_waitcnt vmcnt(0)
	global_store_short v[0:1], v7, off offset:128
	s_or_b64 exec, exec, s[12:13]
	s_and_saveexec_b64 s[0:1], s[2:3]
	s_cbranch_execz .LBB9_22
.LBB9_33:
	s_waitcnt vmcnt(0)
	global_store_short v[0:1], v8, off offset:256
	s_or_b64 exec, exec, s[0:1]
	s_and_saveexec_b64 s[0:1], s[4:5]
	s_cbranch_execz .LBB9_23
.LBB9_34:
	s_waitcnt vmcnt(0)
	global_store_short v[0:1], v9, off offset:384
	s_or_b64 exec, exec, s[0:1]
	s_and_saveexec_b64 s[0:1], s[6:7]
	s_cbranch_execz .LBB9_24
.LBB9_35:
	s_waitcnt vmcnt(0)
	global_store_short v[0:1], v10, off offset:512
	s_or_b64 exec, exec, s[0:1]
	s_and_saveexec_b64 s[0:1], s[8:9]
	s_cbranch_execz .LBB9_25
.LBB9_36:
	s_waitcnt vmcnt(0)
	global_store_short v[0:1], v11, off offset:640
	s_or_b64 exec, exec, s[0:1]
	s_and_saveexec_b64 s[0:1], s[10:11]
	s_cbranch_execnz .LBB9_26
	s_branch .LBB9_27
	.section	.rodata,"a",@progbits
	.p2align	6, 0x0
	.amdhsa_kernel _ZN7rocprim17ROCPRIM_304000_NS6detail16transform_kernelINS1_24wrapped_transform_configINS0_14default_configE12hip_bfloat16EES5_PKS5_PS5_NS0_8identityIS5_EEEEvT1_mT2_T3_
		.amdhsa_group_segment_fixed_size 0
		.amdhsa_private_segment_fixed_size 0
		.amdhsa_kernarg_size 288
		.amdhsa_user_sgpr_count 6
		.amdhsa_user_sgpr_private_segment_buffer 1
		.amdhsa_user_sgpr_dispatch_ptr 0
		.amdhsa_user_sgpr_queue_ptr 0
		.amdhsa_user_sgpr_kernarg_segment_ptr 1
		.amdhsa_user_sgpr_dispatch_id 0
		.amdhsa_user_sgpr_flat_scratch_init 0
		.amdhsa_user_sgpr_kernarg_preload_length 0
		.amdhsa_user_sgpr_kernarg_preload_offset 0
		.amdhsa_user_sgpr_private_segment_size 0
		.amdhsa_uses_dynamic_stack 0
		.amdhsa_system_sgpr_private_segment_wavefront_offset 0
		.amdhsa_system_sgpr_workgroup_id_x 1
		.amdhsa_system_sgpr_workgroup_id_y 0
		.amdhsa_system_sgpr_workgroup_id_z 0
		.amdhsa_system_sgpr_workgroup_info 0
		.amdhsa_system_vgpr_workitem_id 0
		.amdhsa_next_free_vgpr 13
		.amdhsa_next_free_sgpr 20
		.amdhsa_accum_offset 16
		.amdhsa_reserve_vcc 1
		.amdhsa_reserve_flat_scratch 0
		.amdhsa_float_round_mode_32 0
		.amdhsa_float_round_mode_16_64 0
		.amdhsa_float_denorm_mode_32 3
		.amdhsa_float_denorm_mode_16_64 3
		.amdhsa_dx10_clamp 1
		.amdhsa_ieee_mode 1
		.amdhsa_fp16_overflow 0
		.amdhsa_tg_split 0
		.amdhsa_exception_fp_ieee_invalid_op 0
		.amdhsa_exception_fp_denorm_src 0
		.amdhsa_exception_fp_ieee_div_zero 0
		.amdhsa_exception_fp_ieee_overflow 0
		.amdhsa_exception_fp_ieee_underflow 0
		.amdhsa_exception_fp_ieee_inexact 0
		.amdhsa_exception_int_div_zero 0
	.end_amdhsa_kernel
	.section	.text._ZN7rocprim17ROCPRIM_304000_NS6detail16transform_kernelINS1_24wrapped_transform_configINS0_14default_configE12hip_bfloat16EES5_PKS5_PS5_NS0_8identityIS5_EEEEvT1_mT2_T3_,"axG",@progbits,_ZN7rocprim17ROCPRIM_304000_NS6detail16transform_kernelINS1_24wrapped_transform_configINS0_14default_configE12hip_bfloat16EES5_PKS5_PS5_NS0_8identityIS5_EEEEvT1_mT2_T3_,comdat
.Lfunc_end9:
	.size	_ZN7rocprim17ROCPRIM_304000_NS6detail16transform_kernelINS1_24wrapped_transform_configINS0_14default_configE12hip_bfloat16EES5_PKS5_PS5_NS0_8identityIS5_EEEEvT1_mT2_T3_, .Lfunc_end9-_ZN7rocprim17ROCPRIM_304000_NS6detail16transform_kernelINS1_24wrapped_transform_configINS0_14default_configE12hip_bfloat16EES5_PKS5_PS5_NS0_8identityIS5_EEEEvT1_mT2_T3_
                                        ; -- End function
	.section	.AMDGPU.csdata,"",@progbits
; Kernel info:
; codeLenInByte = 836
; NumSgprs: 24
; NumVgprs: 13
; NumAgprs: 0
; TotalNumVgprs: 13
; ScratchSize: 0
; MemoryBound: 0
; FloatMode: 240
; IeeeMode: 1
; LDSByteSize: 0 bytes/workgroup (compile time only)
; SGPRBlocks: 2
; VGPRBlocks: 1
; NumSGPRsForWavesPerEU: 24
; NumVGPRsForWavesPerEU: 13
; AccumOffset: 16
; Occupancy: 8
; WaveLimiterHint : 1
; COMPUTE_PGM_RSRC2:SCRATCH_EN: 0
; COMPUTE_PGM_RSRC2:USER_SGPR: 6
; COMPUTE_PGM_RSRC2:TRAP_HANDLER: 0
; COMPUTE_PGM_RSRC2:TGID_X_EN: 1
; COMPUTE_PGM_RSRC2:TGID_Y_EN: 0
; COMPUTE_PGM_RSRC2:TGID_Z_EN: 0
; COMPUTE_PGM_RSRC2:TIDIG_COMP_CNT: 0
; COMPUTE_PGM_RSRC3_GFX90A:ACCUM_OFFSET: 3
; COMPUTE_PGM_RSRC3_GFX90A:TG_SPLIT: 0
	.section	.text._ZN7rocprim17ROCPRIM_304000_NS6detail16transform_kernelINS1_24wrapped_transform_configINS0_14default_configEN2at4cuda3cub6detail10OpaqueTypeILi8EEEEESA_PKSA_PSA_NS0_8identityISA_EEEEvT1_mT2_T3_,"axG",@progbits,_ZN7rocprim17ROCPRIM_304000_NS6detail16transform_kernelINS1_24wrapped_transform_configINS0_14default_configEN2at4cuda3cub6detail10OpaqueTypeILi8EEEEESA_PKSA_PSA_NS0_8identityISA_EEEEvT1_mT2_T3_,comdat
	.protected	_ZN7rocprim17ROCPRIM_304000_NS6detail16transform_kernelINS1_24wrapped_transform_configINS0_14default_configEN2at4cuda3cub6detail10OpaqueTypeILi8EEEEESA_PKSA_PSA_NS0_8identityISA_EEEEvT1_mT2_T3_ ; -- Begin function _ZN7rocprim17ROCPRIM_304000_NS6detail16transform_kernelINS1_24wrapped_transform_configINS0_14default_configEN2at4cuda3cub6detail10OpaqueTypeILi8EEEEESA_PKSA_PSA_NS0_8identityISA_EEEEvT1_mT2_T3_
	.globl	_ZN7rocprim17ROCPRIM_304000_NS6detail16transform_kernelINS1_24wrapped_transform_configINS0_14default_configEN2at4cuda3cub6detail10OpaqueTypeILi8EEEEESA_PKSA_PSA_NS0_8identityISA_EEEEvT1_mT2_T3_
	.p2align	8
	.type	_ZN7rocprim17ROCPRIM_304000_NS6detail16transform_kernelINS1_24wrapped_transform_configINS0_14default_configEN2at4cuda3cub6detail10OpaqueTypeILi8EEEEESA_PKSA_PSA_NS0_8identityISA_EEEEvT1_mT2_T3_,@function
_ZN7rocprim17ROCPRIM_304000_NS6detail16transform_kernelINS1_24wrapped_transform_configINS0_14default_configEN2at4cuda3cub6detail10OpaqueTypeILi8EEEEESA_PKSA_PSA_NS0_8identityISA_EEEEvT1_mT2_T3_: ; @_ZN7rocprim17ROCPRIM_304000_NS6detail16transform_kernelINS1_24wrapped_transform_configINS0_14default_configEN2at4cuda3cub6detail10OpaqueTypeILi8EEEEESA_PKSA_PSA_NS0_8identityISA_EEEEvT1_mT2_T3_
; %bb.0:
	s_load_dword s7, s[4:5], 0x20
	s_load_dwordx4 s[0:3], s[4:5], 0x0
	s_load_dwordx2 s[8:9], s[4:5], 0x10
	s_lshl_b32 s10, s6, 9
	s_mov_b32 s11, 0
	s_waitcnt lgkmcnt(0)
	s_add_i32 s7, s7, -1
	s_lshl_b64 s[4:5], s[10:11], 3
	s_add_u32 s0, s0, s4
	s_addc_u32 s1, s1, s5
	v_lshlrev_b32_e32 v1, 3, v0
	v_mov_b32_e32 v2, s1
	v_add_co_u32_e32 v4, vcc, s0, v1
	s_cmp_lg_u32 s6, s7
	v_addc_co_u32_e32 v5, vcc, 0, v2, vcc
	s_cbranch_scc0 .LBB10_2
; %bb.1:
	global_load_dwordx2 v[6:7], v[4:5], off
	global_load_dwordx2 v[2:3], v[4:5], off offset:2048
	s_add_u32 s0, s8, s4
	s_addc_u32 s1, s9, s5
	s_waitcnt vmcnt(1)
	global_store_dwordx2 v1, v[6:7], s[0:1]
	s_mov_b64 s[0:1], -1
	s_cbranch_execz .LBB10_3
	s_branch .LBB10_10
.LBB10_2:
	s_mov_b64 s[0:1], 0
                                        ; implicit-def: $vgpr2_vgpr3
.LBB10_3:
	s_sub_i32 s2, s2, s10
	v_cmp_gt_u32_e32 vcc, s2, v0
                                        ; implicit-def: $vgpr6_vgpr7
	s_and_saveexec_b64 s[0:1], vcc
	s_cbranch_execz .LBB10_5
; %bb.4:
	global_load_dwordx2 v[6:7], v[4:5], off
.LBB10_5:
	s_or_b64 exec, exec, s[0:1]
	v_or_b32_e32 v0, 0x100, v0
	v_cmp_gt_u32_e64 s[0:1], s2, v0
                                        ; implicit-def: $vgpr2_vgpr3
	s_and_saveexec_b64 s[2:3], s[0:1]
	s_cbranch_execz .LBB10_7
; %bb.6:
	global_load_dwordx2 v[2:3], v[4:5], off offset:2048
.LBB10_7:
	s_or_b64 exec, exec, s[2:3]
	s_and_saveexec_b64 s[2:3], vcc
	s_xor_b64 s[2:3], exec, s[2:3]
	s_cbranch_execz .LBB10_9
; %bb.8:
	s_add_u32 s6, s8, s4
	s_addc_u32 s7, s9, s5
	s_waitcnt vmcnt(0)
	global_store_dwordx2 v1, v[6:7], s[6:7]
.LBB10_9:
	s_or_b64 exec, exec, s[2:3]
.LBB10_10:
	s_and_saveexec_b64 s[2:3], s[0:1]
	s_cbranch_execnz .LBB10_12
; %bb.11:
	s_endpgm
.LBB10_12:
	s_add_u32 s0, s8, s4
	s_addc_u32 s1, s9, s5
	s_waitcnt vmcnt(0)
	global_store_dwordx2 v1, v[2:3], s[0:1] offset:2048
	s_endpgm
	.section	.rodata,"a",@progbits
	.p2align	6, 0x0
	.amdhsa_kernel _ZN7rocprim17ROCPRIM_304000_NS6detail16transform_kernelINS1_24wrapped_transform_configINS0_14default_configEN2at4cuda3cub6detail10OpaqueTypeILi8EEEEESA_PKSA_PSA_NS0_8identityISA_EEEEvT1_mT2_T3_
		.amdhsa_group_segment_fixed_size 0
		.amdhsa_private_segment_fixed_size 0
		.amdhsa_kernarg_size 288
		.amdhsa_user_sgpr_count 6
		.amdhsa_user_sgpr_private_segment_buffer 1
		.amdhsa_user_sgpr_dispatch_ptr 0
		.amdhsa_user_sgpr_queue_ptr 0
		.amdhsa_user_sgpr_kernarg_segment_ptr 1
		.amdhsa_user_sgpr_dispatch_id 0
		.amdhsa_user_sgpr_flat_scratch_init 0
		.amdhsa_user_sgpr_kernarg_preload_length 0
		.amdhsa_user_sgpr_kernarg_preload_offset 0
		.amdhsa_user_sgpr_private_segment_size 0
		.amdhsa_uses_dynamic_stack 0
		.amdhsa_system_sgpr_private_segment_wavefront_offset 0
		.amdhsa_system_sgpr_workgroup_id_x 1
		.amdhsa_system_sgpr_workgroup_id_y 0
		.amdhsa_system_sgpr_workgroup_id_z 0
		.amdhsa_system_sgpr_workgroup_info 0
		.amdhsa_system_vgpr_workitem_id 0
		.amdhsa_next_free_vgpr 8
		.amdhsa_next_free_sgpr 12
		.amdhsa_accum_offset 8
		.amdhsa_reserve_vcc 1
		.amdhsa_reserve_flat_scratch 0
		.amdhsa_float_round_mode_32 0
		.amdhsa_float_round_mode_16_64 0
		.amdhsa_float_denorm_mode_32 3
		.amdhsa_float_denorm_mode_16_64 3
		.amdhsa_dx10_clamp 1
		.amdhsa_ieee_mode 1
		.amdhsa_fp16_overflow 0
		.amdhsa_tg_split 0
		.amdhsa_exception_fp_ieee_invalid_op 0
		.amdhsa_exception_fp_denorm_src 0
		.amdhsa_exception_fp_ieee_div_zero 0
		.amdhsa_exception_fp_ieee_overflow 0
		.amdhsa_exception_fp_ieee_underflow 0
		.amdhsa_exception_fp_ieee_inexact 0
		.amdhsa_exception_int_div_zero 0
	.end_amdhsa_kernel
	.section	.text._ZN7rocprim17ROCPRIM_304000_NS6detail16transform_kernelINS1_24wrapped_transform_configINS0_14default_configEN2at4cuda3cub6detail10OpaqueTypeILi8EEEEESA_PKSA_PSA_NS0_8identityISA_EEEEvT1_mT2_T3_,"axG",@progbits,_ZN7rocprim17ROCPRIM_304000_NS6detail16transform_kernelINS1_24wrapped_transform_configINS0_14default_configEN2at4cuda3cub6detail10OpaqueTypeILi8EEEEESA_PKSA_PSA_NS0_8identityISA_EEEEvT1_mT2_T3_,comdat
.Lfunc_end10:
	.size	_ZN7rocprim17ROCPRIM_304000_NS6detail16transform_kernelINS1_24wrapped_transform_configINS0_14default_configEN2at4cuda3cub6detail10OpaqueTypeILi8EEEEESA_PKSA_PSA_NS0_8identityISA_EEEEvT1_mT2_T3_, .Lfunc_end10-_ZN7rocprim17ROCPRIM_304000_NS6detail16transform_kernelINS1_24wrapped_transform_configINS0_14default_configEN2at4cuda3cub6detail10OpaqueTypeILi8EEEEESA_PKSA_PSA_NS0_8identityISA_EEEEvT1_mT2_T3_
                                        ; -- End function
	.section	.AMDGPU.csdata,"",@progbits
; Kernel info:
; codeLenInByte = 264
; NumSgprs: 16
; NumVgprs: 8
; NumAgprs: 0
; TotalNumVgprs: 8
; ScratchSize: 0
; MemoryBound: 0
; FloatMode: 240
; IeeeMode: 1
; LDSByteSize: 0 bytes/workgroup (compile time only)
; SGPRBlocks: 1
; VGPRBlocks: 0
; NumSGPRsForWavesPerEU: 16
; NumVGPRsForWavesPerEU: 8
; AccumOffset: 8
; Occupancy: 8
; WaveLimiterHint : 1
; COMPUTE_PGM_RSRC2:SCRATCH_EN: 0
; COMPUTE_PGM_RSRC2:USER_SGPR: 6
; COMPUTE_PGM_RSRC2:TRAP_HANDLER: 0
; COMPUTE_PGM_RSRC2:TGID_X_EN: 1
; COMPUTE_PGM_RSRC2:TGID_Y_EN: 0
; COMPUTE_PGM_RSRC2:TGID_Z_EN: 0
; COMPUTE_PGM_RSRC2:TIDIG_COMP_CNT: 0
; COMPUTE_PGM_RSRC3_GFX90A:ACCUM_OFFSET: 1
; COMPUTE_PGM_RSRC3_GFX90A:TG_SPLIT: 0
	.section	.text._ZN7rocprim17ROCPRIM_304000_NS6detail25onesweep_iteration_kernelINS1_34wrapped_radix_sort_onesweep_configINS0_14default_configE12hip_bfloat16N2at4cuda3cub6detail10OpaqueTypeILi8EEEEELb1EPKS5_PS5_PKSB_PSB_mNS0_19identity_decomposerEEEvT1_T2_T3_T4_jPT5_SP_PNS1_23onesweep_lookback_stateET6_jjj,"axG",@progbits,_ZN7rocprim17ROCPRIM_304000_NS6detail25onesweep_iteration_kernelINS1_34wrapped_radix_sort_onesweep_configINS0_14default_configE12hip_bfloat16N2at4cuda3cub6detail10OpaqueTypeILi8EEEEELb1EPKS5_PS5_PKSB_PSB_mNS0_19identity_decomposerEEEvT1_T2_T3_T4_jPT5_SP_PNS1_23onesweep_lookback_stateET6_jjj,comdat
	.protected	_ZN7rocprim17ROCPRIM_304000_NS6detail25onesweep_iteration_kernelINS1_34wrapped_radix_sort_onesweep_configINS0_14default_configE12hip_bfloat16N2at4cuda3cub6detail10OpaqueTypeILi8EEEEELb1EPKS5_PS5_PKSB_PSB_mNS0_19identity_decomposerEEEvT1_T2_T3_T4_jPT5_SP_PNS1_23onesweep_lookback_stateET6_jjj ; -- Begin function _ZN7rocprim17ROCPRIM_304000_NS6detail25onesweep_iteration_kernelINS1_34wrapped_radix_sort_onesweep_configINS0_14default_configE12hip_bfloat16N2at4cuda3cub6detail10OpaqueTypeILi8EEEEELb1EPKS5_PS5_PKSB_PSB_mNS0_19identity_decomposerEEEvT1_T2_T3_T4_jPT5_SP_PNS1_23onesweep_lookback_stateET6_jjj
	.globl	_ZN7rocprim17ROCPRIM_304000_NS6detail25onesweep_iteration_kernelINS1_34wrapped_radix_sort_onesweep_configINS0_14default_configE12hip_bfloat16N2at4cuda3cub6detail10OpaqueTypeILi8EEEEELb1EPKS5_PS5_PKSB_PSB_mNS0_19identity_decomposerEEEvT1_T2_T3_T4_jPT5_SP_PNS1_23onesweep_lookback_stateET6_jjj
	.p2align	8
	.type	_ZN7rocprim17ROCPRIM_304000_NS6detail25onesweep_iteration_kernelINS1_34wrapped_radix_sort_onesweep_configINS0_14default_configE12hip_bfloat16N2at4cuda3cub6detail10OpaqueTypeILi8EEEEELb1EPKS5_PS5_PKSB_PSB_mNS0_19identity_decomposerEEEvT1_T2_T3_T4_jPT5_SP_PNS1_23onesweep_lookback_stateET6_jjj,@function
_ZN7rocprim17ROCPRIM_304000_NS6detail25onesweep_iteration_kernelINS1_34wrapped_radix_sort_onesweep_configINS0_14default_configE12hip_bfloat16N2at4cuda3cub6detail10OpaqueTypeILi8EEEEELb1EPKS5_PS5_PKSB_PSB_mNS0_19identity_decomposerEEEvT1_T2_T3_T4_jPT5_SP_PNS1_23onesweep_lookback_stateET6_jjj: ; @_ZN7rocprim17ROCPRIM_304000_NS6detail25onesweep_iteration_kernelINS1_34wrapped_radix_sort_onesweep_configINS0_14default_configE12hip_bfloat16N2at4cuda3cub6detail10OpaqueTypeILi8EEEEELb1EPKS5_PS5_PKSB_PSB_mNS0_19identity_decomposerEEEvT1_T2_T3_T4_jPT5_SP_PNS1_23onesweep_lookback_stateET6_jjj
; %bb.0:
	s_load_dwordx4 s[68:71], s[4:5], 0x44
	s_load_dwordx8 s[56:63], s[4:5], 0x0
	s_load_dwordx4 s[64:67], s[4:5], 0x28
	s_load_dwordx2 s[72:73], s[4:5], 0x38
	s_mov_b32 s7, s6
	s_waitcnt lgkmcnt(0)
	s_cmp_ge_u32 s6, s70
	s_mul_i32 s54, s6, 0xc00
	v_mbcnt_lo_u32_b32 v1, -1, 0
	s_cbranch_scc0 .LBB11_129
; %bb.1:
	s_load_dword s2, s[4:5], 0x20
	s_mulk_i32 s70, 0xf400
	s_mov_b32 s55, 0
	s_lshl_b64 s[0:1], s[54:55], 1
	v_and_b32_e32 v2, 0x3ff, v0
	s_waitcnt lgkmcnt(0)
	s_add_i32 s70, s70, s2
	s_add_u32 s0, s56, s0
	v_mbcnt_hi_u32_b32 v13, -1, v1
	s_addc_u32 s1, s57, s1
	v_and_b32_e32 v3, 0xc0, v2
	v_lshlrev_b32_e32 v4, 1, v13
	v_mul_u32_u24_e32 v12, 12, v3
	v_mov_b32_e32 v5, s1
	v_add_co_u32_e32 v4, vcc, s0, v4
	v_addc_co_u32_e32 v5, vcc, 0, v5, vcc
	v_lshlrev_b32_e32 v6, 1, v12
	v_add_co_u32_e32 v4, vcc, v4, v6
	v_addc_co_u32_e32 v5, vcc, 0, v5, vcc
	v_or_b32_e32 v7, v13, v12
	v_cmp_gt_u32_e32 vcc, s70, v7
	v_mov_b32_e32 v10, -1
	v_mov_b32_e32 v6, -1
	s_and_saveexec_b64 s[0:1], vcc
	s_cbranch_execz .LBB11_3
; %bb.2:
	global_load_ushort v6, v[4:5], off
.LBB11_3:
	s_or_b64 exec, exec, s[0:1]
	v_add_u32_e32 v8, 64, v7
	v_cmp_gt_u32_e64 s[0:1], s70, v8
	s_and_saveexec_b64 s[2:3], s[0:1]
	s_cbranch_execz .LBB11_5
; %bb.4:
	global_load_ushort v10, v[4:5], off offset:128
.LBB11_5:
	s_or_b64 exec, exec, s[2:3]
	v_add_u32_e32 v8, 0x80, v7
	v_cmp_gt_u32_e64 s[2:3], s70, v8
	v_mov_b32_e32 v24, -1
	v_mov_b32_e32 v19, -1
	s_and_saveexec_b64 s[8:9], s[2:3]
	s_cbranch_execz .LBB11_7
; %bb.6:
	global_load_ushort v19, v[4:5], off offset:256
.LBB11_7:
	s_or_b64 exec, exec, s[8:9]
	v_add_u32_e32 v8, 0xc0, v7
	v_cmp_gt_u32_e64 s[50:51], s70, v8
	s_and_saveexec_b64 s[8:9], s[50:51]
	s_cbranch_execz .LBB11_9
; %bb.8:
	global_load_ushort v24, v[4:5], off offset:384
.LBB11_9:
	s_or_b64 exec, exec, s[8:9]
	v_add_u32_e32 v8, 0x100, v7
	v_cmp_gt_u32_e64 s[8:9], s70, v8
	v_mov_b32_e32 v36, -1
	v_mov_b32_e32 v30, -1
	s_and_saveexec_b64 s[10:11], s[8:9]
	s_cbranch_execz .LBB11_11
; %bb.10:
	global_load_ushort v30, v[4:5], off offset:512
.LBB11_11:
	;; [unrolled: 18-line block ×5, first 2 shown]
	s_or_b64 exec, exec, s[10:11]
	v_add_u32_e32 v7, 0x2c0, v7
	v_cmp_gt_u32_e64 s[10:11], s70, v7
	s_and_saveexec_b64 s[24:25], s[10:11]
	s_cbranch_execz .LBB11_25
; %bb.24:
	global_load_ushort v16, v[4:5], off offset:1408
.LBB11_25:
	s_or_b64 exec, exec, s[24:25]
	s_load_dword s24, s[4:5], 0x5c
	s_load_dword s33, s[4:5], 0x50
	s_add_u32 s25, s4, 0x50
	s_addc_u32 s26, s5, 0
	v_mov_b32_e32 v4, 0
	s_waitcnt lgkmcnt(0)
	s_lshr_b32 s27, s24, 16
	s_cmp_lt_u32 s6, s33
	s_cselect_b32 s24, 12, 18
	s_add_u32 s24, s25, s24
	s_addc_u32 s25, s26, 0
	global_load_ushort v7, v4, s[24:25]
	v_mov_b32_e32 v15, 0x7fff
	s_waitcnt vmcnt(1)
	v_cmp_gt_i16_e64 s[24:25], 0, v6
	v_mul_u32_u24_e32 v8, 5, v2
	v_cndmask_b32_e64 v14, v15, 0, s[24:25]
	s_movk_i32 s28, 0x8000
	v_lshlrev_b32_e32 v9, 2, v8
	v_xor_b32_e32 v8, v14, v6
	v_cmp_ne_u16_e64 s[24:25], s28, v8
	v_cndmask_b32_e64 v6, v15, v8, s[24:25]
	s_lshl_b32 s24, -1, s69
	v_lshrrev_b32_sdwa v6, s68, v6 dst_sel:DWORD dst_unused:UNUSED_PAD src0_sel:DWORD src1_sel:WORD_0
	s_not_b32 s74, s24
	v_and_b32_e32 v14, s74, v6
	v_and_b32_e32 v6, 1, v14
	v_bfe_u32 v5, v0, 10, 10
	v_bfe_u32 v11, v0, 20, 10
	v_add_co_u32_e64 v18, s[24:25], -1, v6
	v_mad_u32_u24 v11, v11, s27, v5
	v_lshlrev_b32_e32 v5, 30, v14
	v_addc_co_u32_e64 v20, s[24:25], 0, -1, s[24:25]
	v_cmp_ne_u32_e64 s[24:25], 0, v6
	v_cmp_gt_i64_e64 s[26:27], 0, v[4:5]
	v_not_b32_e32 v6, v5
	v_lshlrev_b32_e32 v5, 29, v14
	v_xor_b32_e32 v20, s25, v20
	v_xor_b32_e32 v18, s24, v18
	v_ashrrev_i32_e32 v6, 31, v6
	v_cmp_gt_i64_e64 s[24:25], 0, v[4:5]
	v_not_b32_e32 v22, v5
	v_lshlrev_b32_e32 v5, 28, v14
	v_and_b32_e32 v20, exec_hi, v20
	v_and_b32_e32 v18, exec_lo, v18
	v_xor_b32_e32 v23, s27, v6
	v_xor_b32_e32 v6, s26, v6
	v_ashrrev_i32_e32 v22, 31, v22
	v_cmp_gt_i64_e64 s[26:27], 0, v[4:5]
	v_not_b32_e32 v25, v5
	v_lshlrev_b32_e32 v5, 27, v14
	v_and_b32_e32 v20, v20, v23
	v_and_b32_e32 v6, v18, v6
	v_xor_b32_e32 v18, s25, v22
	v_xor_b32_e32 v22, s24, v22
	v_ashrrev_i32_e32 v23, 31, v25
	v_cmp_gt_i64_e64 s[24:25], 0, v[4:5]
	v_not_b32_e32 v25, v5
	v_lshlrev_b32_e32 v5, 26, v14
	v_and_b32_e32 v18, v20, v18
	v_and_b32_e32 v6, v6, v22
	v_xor_b32_e32 v20, s27, v23
	v_xor_b32_e32 v22, s26, v23
	v_ashrrev_i32_e32 v23, 31, v25
	v_not_b32_e32 v25, v5
	v_cmp_gt_i64_e64 s[26:27], 0, v[4:5]
	v_lshlrev_b32_e32 v5, 25, v14
	v_and_b32_e32 v18, v18, v20
	v_and_b32_e32 v6, v6, v22
	v_xor_b32_e32 v20, s25, v23
	v_xor_b32_e32 v22, s24, v23
	v_ashrrev_i32_e32 v23, 31, v25
	v_cmp_gt_i64_e64 s[24:25], 0, v[4:5]
	v_not_b32_e32 v5, v5
	v_and_b32_e32 v18, v18, v20
	v_and_b32_e32 v6, v6, v22
	v_xor_b32_e32 v20, s27, v23
	v_xor_b32_e32 v22, s26, v23
	v_ashrrev_i32_e32 v5, 31, v5
	v_and_b32_e32 v18, v18, v20
	v_and_b32_e32 v20, v6, v22
	v_mul_u32_u24_e32 v17, 5, v14
	v_xor_b32_e32 v22, s25, v5
	v_xor_b32_e32 v5, s24, v5
	ds_write2_b32 v9, v4, v4 offset0:4 offset1:5
	ds_write2_b32 v9, v4, v4 offset0:6 offset1:7
	ds_write_b32 v9, v4 offset:32
	s_waitcnt lgkmcnt(0)
	s_barrier
	s_waitcnt lgkmcnt(0)
	; wave barrier
	s_waitcnt vmcnt(0)
	v_mad_u64_u32 v[6:7], s[26:27], v11, v7, v[2:3]
	v_lshrrev_b32_e32 v23, 6, v6
	v_add_lshl_u32 v11, v23, v17, 2
	v_and_b32_e32 v17, v20, v5
	v_lshlrev_b32_e32 v5, 24, v14
	v_cmp_gt_i64_e64 s[24:25], 0, v[4:5]
	v_not_b32_e32 v5, v5
	v_ashrrev_i32_e32 v5, 31, v5
	v_and_b32_e32 v6, v18, v22
	v_xor_b32_e32 v7, s25, v5
	v_xor_b32_e32 v5, s24, v5
	v_and_b32_e32 v7, v6, v7
	v_and_b32_e32 v6, v17, v5
	v_mbcnt_lo_u32_b32 v5, v6, 0
	v_mbcnt_hi_u32_b32 v14, v7, v5
	v_cmp_eq_u32_e64 s[24:25], 0, v14
	v_cmp_ne_u64_e64 s[26:27], 0, v[6:7]
	s_and_b64 s[26:27], s[26:27], s[24:25]
	s_and_saveexec_b64 s[24:25], s[26:27]
	s_cbranch_execz .LBB11_27
; %bb.26:
	v_bcnt_u32_b32 v5, v6, 0
	v_bcnt_u32_b32 v5, v7, v5
	ds_write_b32 v11, v5 offset:16
.LBB11_27:
	s_or_b64 exec, exec, s[24:25]
	v_cmp_gt_i16_e64 s[24:25], 0, v10
	v_cndmask_b32_e64 v5, v15, 0, s[24:25]
	v_xor_b32_e32 v10, v5, v10
	v_cmp_ne_u16_e64 s[24:25], s28, v10
	v_cndmask_b32_e64 v5, v15, v10, s[24:25]
	v_lshrrev_b32_sdwa v5, s68, v5 dst_sel:DWORD dst_unused:UNUSED_PAD src0_sel:DWORD src1_sel:WORD_0
	v_and_b32_e32 v6, s74, v5
	v_mul_u32_u24_e32 v5, 5, v6
	v_add_lshl_u32 v17, v23, v5, 2
	v_and_b32_e32 v5, 1, v6
	v_add_co_u32_e64 v7, s[24:25], -1, v5
	v_addc_co_u32_e64 v18, s[24:25], 0, -1, s[24:25]
	v_cmp_ne_u32_e64 s[24:25], 0, v5
	v_xor_b32_e32 v5, s25, v18
	v_and_b32_e32 v18, exec_hi, v5
	v_lshlrev_b32_e32 v5, 30, v6
	v_xor_b32_e32 v7, s24, v7
	v_cmp_gt_i64_e64 s[24:25], 0, v[4:5]
	v_not_b32_e32 v5, v5
	v_ashrrev_i32_e32 v5, 31, v5
	v_and_b32_e32 v7, exec_lo, v7
	v_xor_b32_e32 v20, s25, v5
	v_xor_b32_e32 v5, s24, v5
	v_and_b32_e32 v7, v7, v5
	v_lshlrev_b32_e32 v5, 29, v6
	v_cmp_gt_i64_e64 s[24:25], 0, v[4:5]
	v_not_b32_e32 v5, v5
	v_ashrrev_i32_e32 v5, 31, v5
	v_and_b32_e32 v18, v18, v20
	v_xor_b32_e32 v20, s25, v5
	v_xor_b32_e32 v5, s24, v5
	v_and_b32_e32 v7, v7, v5
	v_lshlrev_b32_e32 v5, 28, v6
	v_cmp_gt_i64_e64 s[24:25], 0, v[4:5]
	v_not_b32_e32 v5, v5
	v_ashrrev_i32_e32 v5, 31, v5
	v_and_b32_e32 v18, v18, v20
	;; [unrolled: 8-line block ×5, first 2 shown]
	v_xor_b32_e32 v20, s25, v5
	v_xor_b32_e32 v5, s24, v5
	v_and_b32_e32 v7, v7, v5
	v_lshlrev_b32_e32 v5, 24, v6
	v_cmp_gt_i64_e64 s[24:25], 0, v[4:5]
	v_not_b32_e32 v4, v5
	v_ashrrev_i32_e32 v4, 31, v4
	v_xor_b32_e32 v5, s25, v4
	v_xor_b32_e32 v4, s24, v4
	; wave barrier
	ds_read_b32 v15, v17 offset:16
	v_and_b32_e32 v18, v18, v20
	v_and_b32_e32 v4, v7, v4
	;; [unrolled: 1-line block ×3, first 2 shown]
	v_mbcnt_lo_u32_b32 v6, v4, 0
	v_mbcnt_hi_u32_b32 v18, v5, v6
	v_cmp_eq_u32_e64 s[24:25], 0, v18
	v_cmp_ne_u64_e64 s[26:27], 0, v[4:5]
	s_and_b64 s[26:27], s[26:27], s[24:25]
	; wave barrier
	s_and_saveexec_b64 s[24:25], s[26:27]
	s_cbranch_execz .LBB11_29
; %bb.28:
	v_bcnt_u32_b32 v4, v4, 0
	v_bcnt_u32_b32 v4, v5, v4
	s_waitcnt lgkmcnt(0)
	v_add_u32_e32 v4, v15, v4
	ds_write_b32 v17, v4 offset:16
.LBB11_29:
	s_or_b64 exec, exec, s[24:25]
	v_mov_b32_e32 v26, 0x7fff
	v_cmp_gt_i16_e64 s[24:25], 0, v19
	v_cndmask_b32_e64 v5, v26, 0, s[24:25]
	v_xor_b32_e32 v19, v5, v19
	v_cmp_ne_u16_e64 s[24:25], s28, v19
	v_cndmask_b32_e64 v5, v26, v19, s[24:25]
	v_lshrrev_b32_sdwa v5, s68, v5 dst_sel:DWORD dst_unused:UNUSED_PAD src0_sel:DWORD src1_sel:WORD_0
	v_and_b32_e32 v6, s74, v5
	v_mul_u32_u24_e32 v5, 5, v6
	v_add_lshl_u32 v22, v23, v5, 2
	v_and_b32_e32 v5, 1, v6
	v_add_co_u32_e64 v7, s[24:25], -1, v5
	v_addc_co_u32_e64 v25, s[24:25], 0, -1, s[24:25]
	v_cmp_ne_u32_e64 s[24:25], 0, v5
	v_xor_b32_e32 v5, s25, v25
	v_mov_b32_e32 v4, 0
	v_and_b32_e32 v25, exec_hi, v5
	v_lshlrev_b32_e32 v5, 30, v6
	v_xor_b32_e32 v7, s24, v7
	v_cmp_gt_i64_e64 s[24:25], 0, v[4:5]
	v_not_b32_e32 v5, v5
	v_ashrrev_i32_e32 v5, 31, v5
	v_and_b32_e32 v7, exec_lo, v7
	v_xor_b32_e32 v28, s25, v5
	v_xor_b32_e32 v5, s24, v5
	v_and_b32_e32 v7, v7, v5
	v_lshlrev_b32_e32 v5, 29, v6
	v_cmp_gt_i64_e64 s[24:25], 0, v[4:5]
	v_not_b32_e32 v5, v5
	v_ashrrev_i32_e32 v5, 31, v5
	v_and_b32_e32 v25, v25, v28
	v_xor_b32_e32 v28, s25, v5
	v_xor_b32_e32 v5, s24, v5
	v_and_b32_e32 v7, v7, v5
	v_lshlrev_b32_e32 v5, 28, v6
	v_cmp_gt_i64_e64 s[24:25], 0, v[4:5]
	v_not_b32_e32 v5, v5
	v_ashrrev_i32_e32 v5, 31, v5
	v_and_b32_e32 v25, v25, v28
	;; [unrolled: 8-line block ×5, first 2 shown]
	v_xor_b32_e32 v28, s25, v5
	v_xor_b32_e32 v5, s24, v5
	v_and_b32_e32 v25, v25, v28
	v_and_b32_e32 v28, v7, v5
	v_lshlrev_b32_e32 v5, 24, v6
	v_cmp_gt_i64_e64 s[24:25], 0, v[4:5]
	v_not_b32_e32 v5, v5
	v_ashrrev_i32_e32 v5, 31, v5
	v_xor_b32_e32 v6, s25, v5
	v_xor_b32_e32 v5, s24, v5
	; wave barrier
	ds_read_b32 v20, v22 offset:16
	v_and_b32_e32 v7, v25, v6
	v_and_b32_e32 v6, v28, v5
	v_mbcnt_lo_u32_b32 v5, v6, 0
	v_mbcnt_hi_u32_b32 v25, v7, v5
	v_cmp_eq_u32_e64 s[24:25], 0, v25
	v_cmp_ne_u64_e64 s[26:27], 0, v[6:7]
	s_and_b64 s[26:27], s[26:27], s[24:25]
	; wave barrier
	s_and_saveexec_b64 s[24:25], s[26:27]
	s_cbranch_execz .LBB11_31
; %bb.30:
	v_bcnt_u32_b32 v5, v6, 0
	v_bcnt_u32_b32 v5, v7, v5
	s_waitcnt lgkmcnt(0)
	v_add_u32_e32 v5, v20, v5
	ds_write_b32 v22, v5 offset:16
.LBB11_31:
	s_or_b64 exec, exec, s[24:25]
	v_cmp_gt_i16_e64 s[24:25], 0, v24
	v_cndmask_b32_e64 v5, v26, 0, s[24:25]
	v_xor_b32_e32 v24, v5, v24
	v_cmp_ne_u16_e64 s[24:25], s28, v24
	v_cndmask_b32_e64 v5, v26, v24, s[24:25]
	v_lshrrev_b32_sdwa v5, s68, v5 dst_sel:DWORD dst_unused:UNUSED_PAD src0_sel:DWORD src1_sel:WORD_0
	v_and_b32_e32 v6, s74, v5
	v_mul_u32_u24_e32 v5, 5, v6
	v_add_lshl_u32 v28, v23, v5, 2
	v_and_b32_e32 v5, 1, v6
	v_add_co_u32_e64 v7, s[24:25], -1, v5
	v_addc_co_u32_e64 v29, s[24:25], 0, -1, s[24:25]
	v_cmp_ne_u32_e64 s[24:25], 0, v5
	v_xor_b32_e32 v5, s25, v29
	v_and_b32_e32 v29, exec_hi, v5
	v_lshlrev_b32_e32 v5, 30, v6
	v_xor_b32_e32 v7, s24, v7
	v_cmp_gt_i64_e64 s[24:25], 0, v[4:5]
	v_not_b32_e32 v5, v5
	v_ashrrev_i32_e32 v5, 31, v5
	v_and_b32_e32 v7, exec_lo, v7
	v_xor_b32_e32 v31, s25, v5
	v_xor_b32_e32 v5, s24, v5
	v_and_b32_e32 v7, v7, v5
	v_lshlrev_b32_e32 v5, 29, v6
	v_cmp_gt_i64_e64 s[24:25], 0, v[4:5]
	v_not_b32_e32 v5, v5
	v_ashrrev_i32_e32 v5, 31, v5
	v_and_b32_e32 v29, v29, v31
	v_xor_b32_e32 v31, s25, v5
	v_xor_b32_e32 v5, s24, v5
	v_and_b32_e32 v7, v7, v5
	v_lshlrev_b32_e32 v5, 28, v6
	v_cmp_gt_i64_e64 s[24:25], 0, v[4:5]
	v_not_b32_e32 v5, v5
	v_ashrrev_i32_e32 v5, 31, v5
	v_and_b32_e32 v29, v29, v31
	;; [unrolled: 8-line block ×5, first 2 shown]
	v_xor_b32_e32 v31, s25, v5
	v_xor_b32_e32 v5, s24, v5
	v_and_b32_e32 v7, v7, v5
	v_lshlrev_b32_e32 v5, 24, v6
	v_cmp_gt_i64_e64 s[24:25], 0, v[4:5]
	v_not_b32_e32 v4, v5
	v_ashrrev_i32_e32 v4, 31, v4
	v_xor_b32_e32 v5, s25, v4
	v_xor_b32_e32 v4, s24, v4
	; wave barrier
	ds_read_b32 v26, v28 offset:16
	v_and_b32_e32 v29, v29, v31
	v_and_b32_e32 v4, v7, v4
	;; [unrolled: 1-line block ×3, first 2 shown]
	v_mbcnt_lo_u32_b32 v6, v4, 0
	v_mbcnt_hi_u32_b32 v29, v5, v6
	v_cmp_eq_u32_e64 s[24:25], 0, v29
	v_cmp_ne_u64_e64 s[26:27], 0, v[4:5]
	s_and_b64 s[26:27], s[26:27], s[24:25]
	; wave barrier
	s_and_saveexec_b64 s[24:25], s[26:27]
	s_cbranch_execz .LBB11_33
; %bb.32:
	v_bcnt_u32_b32 v4, v4, 0
	v_bcnt_u32_b32 v4, v5, v4
	s_waitcnt lgkmcnt(0)
	v_add_u32_e32 v4, v26, v4
	ds_write_b32 v28, v4 offset:16
.LBB11_33:
	s_or_b64 exec, exec, s[24:25]
	v_mov_b32_e32 v37, 0x7fff
	v_cmp_gt_i16_e64 s[24:25], 0, v30
	v_cndmask_b32_e64 v5, v37, 0, s[24:25]
	v_xor_b32_e32 v30, v5, v30
	v_cmp_ne_u16_e64 s[24:25], s28, v30
	v_cndmask_b32_e64 v5, v37, v30, s[24:25]
	v_lshrrev_b32_sdwa v5, s68, v5 dst_sel:DWORD dst_unused:UNUSED_PAD src0_sel:DWORD src1_sel:WORD_0
	v_and_b32_e32 v6, s74, v5
	v_mul_u32_u24_e32 v5, 5, v6
	v_add_lshl_u32 v33, v23, v5, 2
	v_and_b32_e32 v5, 1, v6
	v_add_co_u32_e64 v7, s[24:25], -1, v5
	v_addc_co_u32_e64 v34, s[24:25], 0, -1, s[24:25]
	v_cmp_ne_u32_e64 s[24:25], 0, v5
	v_xor_b32_e32 v5, s25, v34
	v_mov_b32_e32 v4, 0
	v_and_b32_e32 v34, exec_hi, v5
	v_lshlrev_b32_e32 v5, 30, v6
	v_xor_b32_e32 v7, s24, v7
	v_cmp_gt_i64_e64 s[24:25], 0, v[4:5]
	v_not_b32_e32 v5, v5
	v_ashrrev_i32_e32 v5, 31, v5
	v_and_b32_e32 v7, exec_lo, v7
	v_xor_b32_e32 v38, s25, v5
	v_xor_b32_e32 v5, s24, v5
	v_and_b32_e32 v7, v7, v5
	v_lshlrev_b32_e32 v5, 29, v6
	v_cmp_gt_i64_e64 s[24:25], 0, v[4:5]
	v_not_b32_e32 v5, v5
	v_ashrrev_i32_e32 v5, 31, v5
	v_and_b32_e32 v34, v34, v38
	v_xor_b32_e32 v38, s25, v5
	v_xor_b32_e32 v5, s24, v5
	v_and_b32_e32 v7, v7, v5
	v_lshlrev_b32_e32 v5, 28, v6
	v_cmp_gt_i64_e64 s[24:25], 0, v[4:5]
	v_not_b32_e32 v5, v5
	v_ashrrev_i32_e32 v5, 31, v5
	v_and_b32_e32 v34, v34, v38
	;; [unrolled: 8-line block ×5, first 2 shown]
	v_xor_b32_e32 v38, s25, v5
	v_xor_b32_e32 v5, s24, v5
	v_and_b32_e32 v34, v34, v38
	v_and_b32_e32 v38, v7, v5
	v_lshlrev_b32_e32 v5, 24, v6
	v_cmp_gt_i64_e64 s[24:25], 0, v[4:5]
	v_not_b32_e32 v5, v5
	v_ashrrev_i32_e32 v5, 31, v5
	v_xor_b32_e32 v6, s25, v5
	v_xor_b32_e32 v5, s24, v5
	; wave barrier
	ds_read_b32 v31, v33 offset:16
	v_and_b32_e32 v7, v34, v6
	v_and_b32_e32 v6, v38, v5
	v_mbcnt_lo_u32_b32 v5, v6, 0
	v_mbcnt_hi_u32_b32 v34, v7, v5
	v_cmp_eq_u32_e64 s[24:25], 0, v34
	v_cmp_ne_u64_e64 s[26:27], 0, v[6:7]
	s_and_b64 s[26:27], s[26:27], s[24:25]
	; wave barrier
	s_and_saveexec_b64 s[24:25], s[26:27]
	s_cbranch_execz .LBB11_35
; %bb.34:
	v_bcnt_u32_b32 v5, v6, 0
	v_bcnt_u32_b32 v5, v7, v5
	s_waitcnt lgkmcnt(0)
	v_add_u32_e32 v5, v31, v5
	ds_write_b32 v33, v5 offset:16
.LBB11_35:
	s_or_b64 exec, exec, s[24:25]
	v_cmp_gt_i16_e64 s[24:25], 0, v36
	v_cndmask_b32_e64 v5, v37, 0, s[24:25]
	v_xor_b32_e32 v46, v5, v36
	v_cmp_ne_u16_e64 s[24:25], s28, v46
	v_cndmask_b32_e64 v5, v37, v46, s[24:25]
	v_lshrrev_b32_sdwa v5, s68, v5 dst_sel:DWORD dst_unused:UNUSED_PAD src0_sel:DWORD src1_sel:WORD_0
	v_and_b32_e32 v6, s74, v5
	v_mul_u32_u24_e32 v5, 5, v6
	v_add_lshl_u32 v37, v23, v5, 2
	v_and_b32_e32 v5, 1, v6
	v_add_co_u32_e64 v7, s[24:25], -1, v5
	v_addc_co_u32_e64 v38, s[24:25], 0, -1, s[24:25]
	v_cmp_ne_u32_e64 s[24:25], 0, v5
	v_xor_b32_e32 v5, s25, v38
	v_and_b32_e32 v38, exec_hi, v5
	v_lshlrev_b32_e32 v5, 30, v6
	v_xor_b32_e32 v7, s24, v7
	v_cmp_gt_i64_e64 s[24:25], 0, v[4:5]
	v_not_b32_e32 v5, v5
	v_ashrrev_i32_e32 v5, 31, v5
	v_and_b32_e32 v7, exec_lo, v7
	v_xor_b32_e32 v40, s25, v5
	v_xor_b32_e32 v5, s24, v5
	v_and_b32_e32 v7, v7, v5
	v_lshlrev_b32_e32 v5, 29, v6
	v_cmp_gt_i64_e64 s[24:25], 0, v[4:5]
	v_not_b32_e32 v5, v5
	v_ashrrev_i32_e32 v5, 31, v5
	v_and_b32_e32 v38, v38, v40
	v_xor_b32_e32 v40, s25, v5
	v_xor_b32_e32 v5, s24, v5
	v_and_b32_e32 v7, v7, v5
	v_lshlrev_b32_e32 v5, 28, v6
	v_cmp_gt_i64_e64 s[24:25], 0, v[4:5]
	v_not_b32_e32 v5, v5
	v_ashrrev_i32_e32 v5, 31, v5
	v_and_b32_e32 v38, v38, v40
	;; [unrolled: 8-line block ×5, first 2 shown]
	v_xor_b32_e32 v40, s25, v5
	v_xor_b32_e32 v5, s24, v5
	v_and_b32_e32 v7, v7, v5
	v_lshlrev_b32_e32 v5, 24, v6
	v_cmp_gt_i64_e64 s[24:25], 0, v[4:5]
	v_not_b32_e32 v4, v5
	v_ashrrev_i32_e32 v4, 31, v4
	v_xor_b32_e32 v5, s25, v4
	v_xor_b32_e32 v4, s24, v4
	; wave barrier
	ds_read_b32 v36, v37 offset:16
	v_and_b32_e32 v38, v38, v40
	v_and_b32_e32 v4, v7, v4
	;; [unrolled: 1-line block ×3, first 2 shown]
	v_mbcnt_lo_u32_b32 v6, v4, 0
	v_mbcnt_hi_u32_b32 v38, v5, v6
	v_cmp_eq_u32_e64 s[24:25], 0, v38
	v_cmp_ne_u64_e64 s[26:27], 0, v[4:5]
	s_and_b64 s[26:27], s[26:27], s[24:25]
	; wave barrier
	s_and_saveexec_b64 s[24:25], s[26:27]
	s_cbranch_execz .LBB11_37
; %bb.36:
	v_bcnt_u32_b32 v4, v4, 0
	v_bcnt_u32_b32 v4, v5, v4
	s_waitcnt lgkmcnt(0)
	v_add_u32_e32 v4, v36, v4
	ds_write_b32 v37, v4 offset:16
.LBB11_37:
	s_or_b64 exec, exec, s[24:25]
	v_mov_b32_e32 v41, 0x7fff
	v_cmp_gt_i16_e64 s[24:25], 0, v39
	v_cndmask_b32_e64 v5, v41, 0, s[24:25]
	v_xor_b32_e32 v47, v5, v39
	v_cmp_ne_u16_e64 s[24:25], s28, v47
	v_cndmask_b32_e64 v5, v41, v47, s[24:25]
	v_lshrrev_b32_sdwa v5, s68, v5 dst_sel:DWORD dst_unused:UNUSED_PAD src0_sel:DWORD src1_sel:WORD_0
	v_and_b32_e32 v6, s74, v5
	v_mul_u32_u24_e32 v5, 5, v6
	v_add_lshl_u32 v40, v23, v5, 2
	v_and_b32_e32 v5, 1, v6
	v_add_co_u32_e64 v7, s[24:25], -1, v5
	v_addc_co_u32_e64 v42, s[24:25], 0, -1, s[24:25]
	v_cmp_ne_u32_e64 s[24:25], 0, v5
	v_xor_b32_e32 v5, s25, v42
	v_mov_b32_e32 v4, 0
	v_and_b32_e32 v42, exec_hi, v5
	v_lshlrev_b32_e32 v5, 30, v6
	v_xor_b32_e32 v7, s24, v7
	v_cmp_gt_i64_e64 s[24:25], 0, v[4:5]
	v_not_b32_e32 v5, v5
	v_ashrrev_i32_e32 v5, 31, v5
	v_and_b32_e32 v7, exec_lo, v7
	v_xor_b32_e32 v43, s25, v5
	v_xor_b32_e32 v5, s24, v5
	v_and_b32_e32 v7, v7, v5
	v_lshlrev_b32_e32 v5, 29, v6
	v_cmp_gt_i64_e64 s[24:25], 0, v[4:5]
	v_not_b32_e32 v5, v5
	v_ashrrev_i32_e32 v5, 31, v5
	v_and_b32_e32 v42, v42, v43
	v_xor_b32_e32 v43, s25, v5
	v_xor_b32_e32 v5, s24, v5
	v_and_b32_e32 v7, v7, v5
	v_lshlrev_b32_e32 v5, 28, v6
	v_cmp_gt_i64_e64 s[24:25], 0, v[4:5]
	v_not_b32_e32 v5, v5
	v_ashrrev_i32_e32 v5, 31, v5
	v_and_b32_e32 v42, v42, v43
	;; [unrolled: 8-line block ×5, first 2 shown]
	v_xor_b32_e32 v43, s25, v5
	v_xor_b32_e32 v5, s24, v5
	v_and_b32_e32 v42, v42, v43
	v_and_b32_e32 v43, v7, v5
	v_lshlrev_b32_e32 v5, 24, v6
	v_cmp_gt_i64_e64 s[24:25], 0, v[4:5]
	v_not_b32_e32 v5, v5
	v_ashrrev_i32_e32 v5, 31, v5
	v_xor_b32_e32 v6, s25, v5
	v_xor_b32_e32 v5, s24, v5
	; wave barrier
	ds_read_b32 v39, v40 offset:16
	v_and_b32_e32 v7, v42, v6
	v_and_b32_e32 v6, v43, v5
	v_mbcnt_lo_u32_b32 v5, v6, 0
	v_mbcnt_hi_u32_b32 v49, v7, v5
	v_cmp_eq_u32_e64 s[24:25], 0, v49
	v_cmp_ne_u64_e64 s[26:27], 0, v[6:7]
	s_and_b64 s[26:27], s[26:27], s[24:25]
	; wave barrier
	s_and_saveexec_b64 s[24:25], s[26:27]
	s_cbranch_execz .LBB11_39
; %bb.38:
	v_bcnt_u32_b32 v5, v6, 0
	v_bcnt_u32_b32 v5, v7, v5
	s_waitcnt lgkmcnt(0)
	v_add_u32_e32 v5, v39, v5
	ds_write_b32 v40, v5 offset:16
.LBB11_39:
	s_or_b64 exec, exec, s[24:25]
	v_cmp_gt_i16_e64 s[24:25], 0, v35
	v_cndmask_b32_e64 v5, v41, 0, s[24:25]
	v_xor_b32_e32 v48, v5, v35
	v_cmp_ne_u16_e64 s[24:25], s28, v48
	v_cndmask_b32_e64 v5, v41, v48, s[24:25]
	v_lshrrev_b32_sdwa v5, s68, v5 dst_sel:DWORD dst_unused:UNUSED_PAD src0_sel:DWORD src1_sel:WORD_0
	v_and_b32_e32 v6, s74, v5
	v_mul_u32_u24_e32 v5, 5, v6
	v_add_lshl_u32 v41, v23, v5, 2
	v_and_b32_e32 v5, 1, v6
	v_add_co_u32_e64 v7, s[24:25], -1, v5
	v_addc_co_u32_e64 v42, s[24:25], 0, -1, s[24:25]
	v_cmp_ne_u32_e64 s[24:25], 0, v5
	v_xor_b32_e32 v5, s25, v42
	v_and_b32_e32 v42, exec_hi, v5
	v_lshlrev_b32_e32 v5, 30, v6
	v_xor_b32_e32 v7, s24, v7
	v_cmp_gt_i64_e64 s[24:25], 0, v[4:5]
	v_not_b32_e32 v5, v5
	v_ashrrev_i32_e32 v5, 31, v5
	v_and_b32_e32 v7, exec_lo, v7
	v_xor_b32_e32 v43, s25, v5
	v_xor_b32_e32 v5, s24, v5
	v_and_b32_e32 v7, v7, v5
	v_lshlrev_b32_e32 v5, 29, v6
	v_cmp_gt_i64_e64 s[24:25], 0, v[4:5]
	v_not_b32_e32 v5, v5
	v_ashrrev_i32_e32 v5, 31, v5
	v_and_b32_e32 v42, v42, v43
	v_xor_b32_e32 v43, s25, v5
	v_xor_b32_e32 v5, s24, v5
	v_and_b32_e32 v7, v7, v5
	v_lshlrev_b32_e32 v5, 28, v6
	v_cmp_gt_i64_e64 s[24:25], 0, v[4:5]
	v_not_b32_e32 v5, v5
	v_ashrrev_i32_e32 v5, 31, v5
	v_and_b32_e32 v42, v42, v43
	;; [unrolled: 8-line block ×5, first 2 shown]
	v_xor_b32_e32 v43, s25, v5
	v_xor_b32_e32 v5, s24, v5
	v_and_b32_e32 v7, v7, v5
	v_lshlrev_b32_e32 v5, 24, v6
	v_cmp_gt_i64_e64 s[24:25], 0, v[4:5]
	v_not_b32_e32 v4, v5
	v_ashrrev_i32_e32 v4, 31, v4
	v_xor_b32_e32 v5, s25, v4
	v_xor_b32_e32 v4, s24, v4
	; wave barrier
	ds_read_b32 v35, v41 offset:16
	v_and_b32_e32 v42, v42, v43
	v_and_b32_e32 v4, v7, v4
	;; [unrolled: 1-line block ×3, first 2 shown]
	v_mbcnt_lo_u32_b32 v6, v4, 0
	v_mbcnt_hi_u32_b32 v50, v5, v6
	v_cmp_eq_u32_e64 s[24:25], 0, v50
	v_cmp_ne_u64_e64 s[26:27], 0, v[4:5]
	s_and_b64 s[26:27], s[26:27], s[24:25]
	; wave barrier
	s_and_saveexec_b64 s[24:25], s[26:27]
	s_cbranch_execz .LBB11_41
; %bb.40:
	v_bcnt_u32_b32 v4, v4, 0
	v_bcnt_u32_b32 v4, v5, v4
	s_waitcnt lgkmcnt(0)
	v_add_u32_e32 v4, v35, v4
	ds_write_b32 v41, v4 offset:16
.LBB11_41:
	s_or_b64 exec, exec, s[24:25]
	v_mov_b32_e32 v43, 0x7fff
	v_cmp_gt_i16_e64 s[24:25], 0, v32
	v_cndmask_b32_e64 v5, v43, 0, s[24:25]
	v_xor_b32_e32 v32, v5, v32
	v_cmp_ne_u16_e64 s[24:25], s28, v32
	v_cndmask_b32_e64 v5, v43, v32, s[24:25]
	v_lshrrev_b32_sdwa v5, s68, v5 dst_sel:DWORD dst_unused:UNUSED_PAD src0_sel:DWORD src1_sel:WORD_0
	v_and_b32_e32 v6, s74, v5
	v_mul_u32_u24_e32 v5, 5, v6
	v_add_lshl_u32 v42, v23, v5, 2
	v_and_b32_e32 v5, 1, v6
	v_add_co_u32_e64 v7, s[24:25], -1, v5
	v_addc_co_u32_e64 v44, s[24:25], 0, -1, s[24:25]
	v_cmp_ne_u32_e64 s[24:25], 0, v5
	v_xor_b32_e32 v5, s25, v44
	v_mov_b32_e32 v4, 0
	v_and_b32_e32 v44, exec_hi, v5
	v_lshlrev_b32_e32 v5, 30, v6
	v_xor_b32_e32 v7, s24, v7
	v_cmp_gt_i64_e64 s[24:25], 0, v[4:5]
	v_not_b32_e32 v5, v5
	v_ashrrev_i32_e32 v5, 31, v5
	v_and_b32_e32 v7, exec_lo, v7
	v_xor_b32_e32 v45, s25, v5
	v_xor_b32_e32 v5, s24, v5
	v_and_b32_e32 v7, v7, v5
	v_lshlrev_b32_e32 v5, 29, v6
	v_cmp_gt_i64_e64 s[24:25], 0, v[4:5]
	v_not_b32_e32 v5, v5
	v_ashrrev_i32_e32 v5, 31, v5
	v_and_b32_e32 v44, v44, v45
	v_xor_b32_e32 v45, s25, v5
	v_xor_b32_e32 v5, s24, v5
	v_and_b32_e32 v7, v7, v5
	v_lshlrev_b32_e32 v5, 28, v6
	v_cmp_gt_i64_e64 s[24:25], 0, v[4:5]
	v_not_b32_e32 v5, v5
	v_ashrrev_i32_e32 v5, 31, v5
	v_and_b32_e32 v44, v44, v45
	;; [unrolled: 8-line block ×5, first 2 shown]
	v_xor_b32_e32 v45, s25, v5
	v_xor_b32_e32 v5, s24, v5
	v_and_b32_e32 v44, v44, v45
	v_and_b32_e32 v45, v7, v5
	v_lshlrev_b32_e32 v5, 24, v6
	v_cmp_gt_i64_e64 s[24:25], 0, v[4:5]
	v_not_b32_e32 v5, v5
	v_ashrrev_i32_e32 v5, 31, v5
	v_xor_b32_e32 v6, s25, v5
	v_xor_b32_e32 v5, s24, v5
	; wave barrier
	ds_read_b32 v51, v42 offset:16
	v_and_b32_e32 v7, v44, v6
	v_and_b32_e32 v6, v45, v5
	v_mbcnt_lo_u32_b32 v5, v6, 0
	v_mbcnt_hi_u32_b32 v52, v7, v5
	v_cmp_eq_u32_e64 s[24:25], 0, v52
	v_cmp_ne_u64_e64 s[26:27], 0, v[6:7]
	s_and_b64 s[26:27], s[26:27], s[24:25]
	; wave barrier
	s_and_saveexec_b64 s[24:25], s[26:27]
	s_cbranch_execz .LBB11_43
; %bb.42:
	v_bcnt_u32_b32 v5, v6, 0
	v_bcnt_u32_b32 v5, v7, v5
	s_waitcnt lgkmcnt(0)
	v_add_u32_e32 v5, v51, v5
	ds_write_b32 v42, v5 offset:16
.LBB11_43:
	s_or_b64 exec, exec, s[24:25]
	v_cmp_gt_i16_e64 s[24:25], 0, v27
	v_cndmask_b32_e64 v5, v43, 0, s[24:25]
	v_xor_b32_e32 v27, v5, v27
	v_cmp_ne_u16_e64 s[24:25], s28, v27
	v_cndmask_b32_e64 v5, v43, v27, s[24:25]
	v_lshrrev_b32_sdwa v5, s68, v5 dst_sel:DWORD dst_unused:UNUSED_PAD src0_sel:DWORD src1_sel:WORD_0
	v_and_b32_e32 v6, s74, v5
	v_mul_u32_u24_e32 v5, 5, v6
	v_add_lshl_u32 v43, v23, v5, 2
	v_and_b32_e32 v5, 1, v6
	v_add_co_u32_e64 v7, s[24:25], -1, v5
	v_addc_co_u32_e64 v44, s[24:25], 0, -1, s[24:25]
	v_cmp_ne_u32_e64 s[24:25], 0, v5
	v_xor_b32_e32 v5, s25, v44
	v_and_b32_e32 v44, exec_hi, v5
	v_lshlrev_b32_e32 v5, 30, v6
	v_xor_b32_e32 v7, s24, v7
	v_cmp_gt_i64_e64 s[24:25], 0, v[4:5]
	v_not_b32_e32 v5, v5
	v_ashrrev_i32_e32 v5, 31, v5
	v_and_b32_e32 v7, exec_lo, v7
	v_xor_b32_e32 v45, s25, v5
	v_xor_b32_e32 v5, s24, v5
	v_and_b32_e32 v7, v7, v5
	v_lshlrev_b32_e32 v5, 29, v6
	v_cmp_gt_i64_e64 s[24:25], 0, v[4:5]
	v_not_b32_e32 v5, v5
	v_ashrrev_i32_e32 v5, 31, v5
	v_and_b32_e32 v44, v44, v45
	v_xor_b32_e32 v45, s25, v5
	v_xor_b32_e32 v5, s24, v5
	v_and_b32_e32 v7, v7, v5
	v_lshlrev_b32_e32 v5, 28, v6
	v_cmp_gt_i64_e64 s[24:25], 0, v[4:5]
	v_not_b32_e32 v5, v5
	v_ashrrev_i32_e32 v5, 31, v5
	v_and_b32_e32 v44, v44, v45
	v_xor_b32_e32 v45, s25, v5
	v_xor_b32_e32 v5, s24, v5
	v_and_b32_e32 v7, v7, v5
	v_lshlrev_b32_e32 v5, 27, v6
	v_cmp_gt_i64_e64 s[24:25], 0, v[4:5]
	v_not_b32_e32 v5, v5
	v_ashrrev_i32_e32 v5, 31, v5
	v_and_b32_e32 v44, v44, v45
	v_xor_b32_e32 v45, s25, v5
	v_xor_b32_e32 v5, s24, v5
	v_and_b32_e32 v7, v7, v5
	v_lshlrev_b32_e32 v5, 26, v6
	v_cmp_gt_i64_e64 s[24:25], 0, v[4:5]
	v_not_b32_e32 v5, v5
	v_ashrrev_i32_e32 v5, 31, v5
	v_and_b32_e32 v44, v44, v45
	v_xor_b32_e32 v45, s25, v5
	v_xor_b32_e32 v5, s24, v5
	v_and_b32_e32 v7, v7, v5
	v_lshlrev_b32_e32 v5, 25, v6
	v_cmp_gt_i64_e64 s[24:25], 0, v[4:5]
	v_not_b32_e32 v5, v5
	v_ashrrev_i32_e32 v5, 31, v5
	v_and_b32_e32 v44, v44, v45
	v_xor_b32_e32 v45, s25, v5
	v_xor_b32_e32 v5, s24, v5
	v_and_b32_e32 v7, v7, v5
	v_lshlrev_b32_e32 v5, 24, v6
	v_cmp_gt_i64_e64 s[24:25], 0, v[4:5]
	v_not_b32_e32 v4, v5
	v_ashrrev_i32_e32 v4, 31, v4
	v_xor_b32_e32 v5, s25, v4
	v_xor_b32_e32 v4, s24, v4
	; wave barrier
	ds_read_b32 v53, v43 offset:16
	v_and_b32_e32 v44, v44, v45
	v_and_b32_e32 v4, v7, v4
	;; [unrolled: 1-line block ×3, first 2 shown]
	v_mbcnt_lo_u32_b32 v6, v4, 0
	v_mbcnt_hi_u32_b32 v54, v5, v6
	v_cmp_eq_u32_e64 s[24:25], 0, v54
	v_cmp_ne_u64_e64 s[26:27], 0, v[4:5]
	s_and_b64 s[26:27], s[26:27], s[24:25]
	; wave barrier
	s_and_saveexec_b64 s[24:25], s[26:27]
	s_cbranch_execz .LBB11_45
; %bb.44:
	v_bcnt_u32_b32 v4, v4, 0
	v_bcnt_u32_b32 v4, v5, v4
	s_waitcnt lgkmcnt(0)
	v_add_u32_e32 v4, v53, v4
	ds_write_b32 v43, v4 offset:16
.LBB11_45:
	s_or_b64 exec, exec, s[24:25]
	v_mov_b32_e32 v45, 0x7fff
	v_cmp_gt_i16_e64 s[24:25], 0, v21
	v_cndmask_b32_e64 v5, v45, 0, s[24:25]
	v_xor_b32_e32 v21, v5, v21
	v_cmp_ne_u16_e64 s[24:25], s28, v21
	v_cndmask_b32_e64 v5, v45, v21, s[24:25]
	v_lshrrev_b32_sdwa v5, s68, v5 dst_sel:DWORD dst_unused:UNUSED_PAD src0_sel:DWORD src1_sel:WORD_0
	v_and_b32_e32 v6, s74, v5
	v_mul_u32_u24_e32 v5, 5, v6
	v_add_lshl_u32 v44, v23, v5, 2
	v_and_b32_e32 v5, 1, v6
	v_add_co_u32_e64 v7, s[24:25], -1, v5
	v_addc_co_u32_e64 v56, s[24:25], 0, -1, s[24:25]
	v_cmp_ne_u32_e64 s[24:25], 0, v5
	v_xor_b32_e32 v5, s25, v56
	v_mov_b32_e32 v4, 0
	v_and_b32_e32 v56, exec_hi, v5
	v_lshlrev_b32_e32 v5, 30, v6
	v_xor_b32_e32 v7, s24, v7
	v_cmp_gt_i64_e64 s[24:25], 0, v[4:5]
	v_not_b32_e32 v5, v5
	v_ashrrev_i32_e32 v5, 31, v5
	v_and_b32_e32 v7, exec_lo, v7
	v_xor_b32_e32 v57, s25, v5
	v_xor_b32_e32 v5, s24, v5
	v_and_b32_e32 v7, v7, v5
	v_lshlrev_b32_e32 v5, 29, v6
	v_cmp_gt_i64_e64 s[24:25], 0, v[4:5]
	v_not_b32_e32 v5, v5
	v_ashrrev_i32_e32 v5, 31, v5
	v_and_b32_e32 v56, v56, v57
	v_xor_b32_e32 v57, s25, v5
	v_xor_b32_e32 v5, s24, v5
	v_and_b32_e32 v7, v7, v5
	v_lshlrev_b32_e32 v5, 28, v6
	v_cmp_gt_i64_e64 s[24:25], 0, v[4:5]
	v_not_b32_e32 v5, v5
	v_ashrrev_i32_e32 v5, 31, v5
	v_and_b32_e32 v56, v56, v57
	;; [unrolled: 8-line block ×5, first 2 shown]
	v_xor_b32_e32 v57, s25, v5
	v_xor_b32_e32 v5, s24, v5
	v_and_b32_e32 v56, v56, v57
	v_and_b32_e32 v57, v7, v5
	v_lshlrev_b32_e32 v5, 24, v6
	v_cmp_gt_i64_e64 s[24:25], 0, v[4:5]
	v_not_b32_e32 v5, v5
	v_ashrrev_i32_e32 v5, 31, v5
	v_xor_b32_e32 v6, s25, v5
	v_xor_b32_e32 v5, s24, v5
	; wave barrier
	ds_read_b32 v55, v44 offset:16
	v_and_b32_e32 v7, v56, v6
	v_and_b32_e32 v6, v57, v5
	v_mbcnt_lo_u32_b32 v5, v6, 0
	v_mbcnt_hi_u32_b32 v56, v7, v5
	v_cmp_eq_u32_e64 s[24:25], 0, v56
	v_cmp_ne_u64_e64 s[26:27], 0, v[6:7]
	s_and_b64 s[26:27], s[26:27], s[24:25]
	; wave barrier
	s_and_saveexec_b64 s[24:25], s[26:27]
	s_cbranch_execz .LBB11_47
; %bb.46:
	v_bcnt_u32_b32 v5, v6, 0
	v_bcnt_u32_b32 v5, v7, v5
	s_waitcnt lgkmcnt(0)
	v_add_u32_e32 v5, v55, v5
	ds_write_b32 v44, v5 offset:16
.LBB11_47:
	s_or_b64 exec, exec, s[24:25]
	v_cmp_gt_i16_e64 s[24:25], 0, v16
	v_cndmask_b32_e64 v5, v45, 0, s[24:25]
	v_xor_b32_e32 v16, v5, v16
	v_cmp_ne_u16_e64 s[24:25], s28, v16
	v_cndmask_b32_e64 v5, v45, v16, s[24:25]
	v_lshrrev_b32_sdwa v5, s68, v5 dst_sel:DWORD dst_unused:UNUSED_PAD src0_sel:DWORD src1_sel:WORD_0
	v_and_b32_e32 v6, s74, v5
	v_mul_u32_u24_e32 v5, 5, v6
	v_add_lshl_u32 v45, v5, v23, 2
	v_and_b32_e32 v5, 1, v6
	v_add_co_u32_e64 v7, s[24:25], -1, v5
	v_addc_co_u32_e64 v58, s[24:25], 0, -1, s[24:25]
	v_cmp_ne_u32_e64 s[24:25], 0, v5
	v_xor_b32_e32 v5, s25, v58
	v_and_b32_e32 v58, exec_hi, v5
	v_lshlrev_b32_e32 v5, 30, v6
	v_xor_b32_e32 v7, s24, v7
	v_cmp_gt_i64_e64 s[24:25], 0, v[4:5]
	v_not_b32_e32 v5, v5
	v_ashrrev_i32_e32 v5, 31, v5
	v_and_b32_e32 v7, exec_lo, v7
	v_xor_b32_e32 v59, s25, v5
	v_xor_b32_e32 v5, s24, v5
	v_and_b32_e32 v7, v7, v5
	v_lshlrev_b32_e32 v5, 29, v6
	v_cmp_gt_i64_e64 s[24:25], 0, v[4:5]
	v_not_b32_e32 v5, v5
	v_ashrrev_i32_e32 v5, 31, v5
	v_and_b32_e32 v58, v58, v59
	v_xor_b32_e32 v59, s25, v5
	v_xor_b32_e32 v5, s24, v5
	v_and_b32_e32 v7, v7, v5
	v_lshlrev_b32_e32 v5, 28, v6
	v_cmp_gt_i64_e64 s[24:25], 0, v[4:5]
	v_not_b32_e32 v5, v5
	v_ashrrev_i32_e32 v5, 31, v5
	v_and_b32_e32 v58, v58, v59
	;; [unrolled: 8-line block ×5, first 2 shown]
	v_xor_b32_e32 v59, s25, v5
	v_xor_b32_e32 v5, s24, v5
	v_and_b32_e32 v7, v7, v5
	v_lshlrev_b32_e32 v5, 24, v6
	v_cmp_gt_i64_e64 s[24:25], 0, v[4:5]
	v_not_b32_e32 v4, v5
	v_ashrrev_i32_e32 v4, 31, v4
	v_xor_b32_e32 v5, s25, v4
	v_xor_b32_e32 v4, s24, v4
	; wave barrier
	ds_read_b32 v23, v45 offset:16
	v_and_b32_e32 v58, v58, v59
	v_and_b32_e32 v4, v7, v4
	;; [unrolled: 1-line block ×3, first 2 shown]
	v_mbcnt_lo_u32_b32 v6, v4, 0
	v_mbcnt_hi_u32_b32 v58, v5, v6
	v_cmp_eq_u32_e64 s[24:25], 0, v58
	v_cmp_ne_u64_e64 s[26:27], 0, v[4:5]
	v_add_u32_e32 v57, 16, v9
	s_and_b64 s[26:27], s[26:27], s[24:25]
	; wave barrier
	s_and_saveexec_b64 s[24:25], s[26:27]
	s_cbranch_execz .LBB11_49
; %bb.48:
	v_bcnt_u32_b32 v4, v4, 0
	v_bcnt_u32_b32 v4, v5, v4
	s_waitcnt lgkmcnt(0)
	v_add_u32_e32 v4, v23, v4
	ds_write_b32 v45, v4 offset:16
.LBB11_49:
	s_or_b64 exec, exec, s[24:25]
	; wave barrier
	s_waitcnt lgkmcnt(0)
	s_barrier
	ds_read2_b32 v[6:7], v9 offset0:4 offset1:5
	ds_read2_b32 v[4:5], v57 offset0:2 offset1:3
	ds_read_b32 v59, v57 offset:16
	v_min_u32_e32 v3, 0xc0, v3
	v_or_b32_e32 v3, 63, v3
	s_waitcnt lgkmcnt(1)
	v_add3_u32 v60, v7, v6, v4
	s_waitcnt lgkmcnt(0)
	v_add3_u32 v59, v60, v5, v59
	v_and_b32_e32 v60, 15, v13
	v_cmp_ne_u32_e64 s[24:25], 0, v60
	v_mov_b32_dpp v61, v59 row_shr:1 row_mask:0xf bank_mask:0xf
	v_cndmask_b32_e64 v61, 0, v61, s[24:25]
	v_add_u32_e32 v59, v61, v59
	v_cmp_lt_u32_e64 s[24:25], 1, v60
	s_nop 0
	v_mov_b32_dpp v61, v59 row_shr:2 row_mask:0xf bank_mask:0xf
	v_cndmask_b32_e64 v61, 0, v61, s[24:25]
	v_add_u32_e32 v59, v59, v61
	v_cmp_lt_u32_e64 s[24:25], 3, v60
	s_nop 0
	v_mov_b32_dpp v61, v59 row_shr:4 row_mask:0xf bank_mask:0xf
	v_cndmask_b32_e64 v61, 0, v61, s[24:25]
	v_add_u32_e32 v59, v59, v61
	v_cmp_lt_u32_e64 s[24:25], 7, v60
	s_nop 0
	v_mov_b32_dpp v61, v59 row_shr:8 row_mask:0xf bank_mask:0xf
	v_cndmask_b32_e64 v60, 0, v61, s[24:25]
	v_add_u32_e32 v59, v59, v60
	v_bfe_i32 v61, v13, 4, 1
	v_cmp_lt_u32_e64 s[24:25], 31, v13
	v_mov_b32_dpp v60, v59 row_bcast:15 row_mask:0xf bank_mask:0xf
	v_and_b32_e32 v60, v61, v60
	v_add_u32_e32 v59, v59, v60
	s_nop 1
	v_mov_b32_dpp v60, v59 row_bcast:31 row_mask:0xf bank_mask:0xf
	v_cndmask_b32_e64 v60, 0, v60, s[24:25]
	v_add_u32_e32 v59, v59, v60
	v_lshrrev_b32_e32 v60, 6, v2
	v_cmp_eq_u32_e64 s[24:25], v3, v2
	s_and_saveexec_b64 s[26:27], s[24:25]
	s_cbranch_execz .LBB11_51
; %bb.50:
	v_lshlrev_b32_e32 v3, 2, v60
	ds_write_b32 v3, v59
.LBB11_51:
	s_or_b64 exec, exec, s[26:27]
	v_cmp_gt_u32_e64 s[24:25], 4, v2
	s_waitcnt lgkmcnt(0)
	s_barrier
	s_and_saveexec_b64 s[26:27], s[24:25]
	s_cbranch_execz .LBB11_53
; %bb.52:
	v_lshlrev_b32_e32 v3, 2, v2
	ds_read_b32 v61, v3
	v_and_b32_e32 v62, 3, v13
	v_cmp_ne_u32_e64 s[24:25], 0, v62
	s_waitcnt lgkmcnt(0)
	v_mov_b32_dpp v63, v61 row_shr:1 row_mask:0xf bank_mask:0xf
	v_cndmask_b32_e64 v63, 0, v63, s[24:25]
	v_add_u32_e32 v61, v63, v61
	v_cmp_lt_u32_e64 s[24:25], 1, v62
	s_nop 0
	v_mov_b32_dpp v63, v61 row_shr:2 row_mask:0xf bank_mask:0xf
	v_cndmask_b32_e64 v62, 0, v63, s[24:25]
	v_add_u32_e32 v61, v61, v62
	ds_write_b32 v3, v61
.LBB11_53:
	s_or_b64 exec, exec, s[26:27]
	v_cmp_lt_u32_e64 s[24:25], 63, v2
	v_mov_b32_e32 v3, 0
	s_waitcnt lgkmcnt(0)
	s_barrier
	s_and_saveexec_b64 s[26:27], s[24:25]
	s_cbranch_execz .LBB11_55
; %bb.54:
	v_lshl_add_u32 v3, v60, 2, -4
	ds_read_b32 v3, v3
.LBB11_55:
	s_or_b64 exec, exec, s[26:27]
	v_add_u32_e32 v60, -1, v13
	v_and_b32_e32 v61, 64, v13
	v_cmp_lt_i32_e64 s[24:25], v60, v61
	v_cndmask_b32_e64 v60, v60, v13, s[24:25]
	s_waitcnt lgkmcnt(0)
	v_add_u32_e32 v59, v3, v59
	v_lshlrev_b32_e32 v60, 2, v60
	ds_bpermute_b32 v59, v60, v59
	v_cmp_eq_u32_e64 s[24:25], 0, v13
	s_waitcnt lgkmcnt(0)
	v_cndmask_b32_e64 v3, v59, v3, s[24:25]
	v_cmp_ne_u32_e64 s[24:25], 0, v2
	v_cndmask_b32_e64 v3, 0, v3, s[24:25]
	v_add_u32_e32 v6, v3, v6
	v_add_u32_e32 v7, v6, v7
	v_add_u32_e32 v4, v7, v4
	v_add_u32_e32 v5, v4, v5
	ds_write2_b32 v9, v3, v6 offset0:4 offset1:5
	ds_write2_b32 v57, v7, v4 offset0:2 offset1:3
	ds_write_b32 v57, v5 offset:16
	s_waitcnt lgkmcnt(0)
	s_barrier
	ds_read_b32 v5, v17 offset:16
	ds_read_b32 v6, v22 offset:16
	;; [unrolled: 1-line block ×13, first 2 shown]
	v_add_u32_e32 v9, 1, v2
	s_movk_i32 s24, 0x100
	v_cmp_ne_u32_e64 s[24:25], s24, v9
	v_mov_b32_e32 v3, 0xc00
	s_and_saveexec_b64 s[26:27], s[24:25]
	s_cbranch_execz .LBB11_57
; %bb.56:
	v_mul_u32_u24_e32 v3, 5, v9
	v_lshlrev_b32_e32 v3, 2, v3
	ds_read_b32 v3, v3 offset:16
.LBB11_57:
	s_or_b64 exec, exec, s[26:27]
	s_waitcnt lgkmcnt(1)
	v_add_u32_e32 v45, v11, v14
	v_add3_u32 v44, v18, v15, v5
	v_lshlrev_b32_e32 v5, 1, v45
	v_add3_u32 v43, v25, v20, v6
	s_waitcnt lgkmcnt(0)
	s_barrier
	ds_write_b16 v5, v8 offset:2048
	v_lshlrev_b32_e32 v5, 1, v44
	v_add3_u32 v42, v29, v26, v7
	ds_write_b16 v5, v10 offset:2048
	v_lshlrev_b32_e32 v5, 1, v43
	v_add3_u32 v41, v34, v31, v17
	;; [unrolled: 3-line block ×8, first 2 shown]
	ds_write_b16 v5, v32 offset:2048
	v_lshlrev_b32_e32 v5, 1, v36
	v_lshl_add_u32 v6, s6, 8, v2
	v_mov_b32_e32 v7, 0
	v_add3_u32 v34, v58, v23, v60
	ds_write_b16 v5, v27 offset:2048
	v_lshlrev_b32_e32 v5, 1, v35
	v_lshlrev_b64 v[8:9], 2, v[6:7]
	ds_write_b16 v5, v21 offset:2048
	v_lshlrev_b32_e32 v5, 1, v34
	v_sub_u32_e32 v32, v3, v4
	v_mov_b32_e32 v3, s73
	v_add_co_u32_e64 v8, s[24:25], s72, v8
	ds_write_b16 v5, v16 offset:2048
	v_addc_co_u32_e64 v9, s[24:25], v3, v9, s[24:25]
	v_or_b32_e32 v5, 2.0, v32
	s_waitcnt lgkmcnt(0)
	s_barrier
	global_store_dword v[8:9], v5, off
	s_mov_b64 s[26:27], 0
	s_brev_b32 s34, 1
	s_mov_b32 s35, s7
	v_mov_b32_e32 v5, 0
                                        ; implicit-def: $sgpr24_sgpr25
	s_branch .LBB11_59
.LBB11_58:                              ;   in Loop: Header=BB11_59 Depth=1
	s_or_b64 exec, exec, s[28:29]
	v_and_b32_e32 v10, 0x3fffffff, v14
	v_add_u32_e32 v5, v10, v5
	v_cmp_eq_u32_e64 s[24:25], s34, v6
	s_and_b64 s[28:29], exec, s[24:25]
	s_or_b64 s[26:27], s[28:29], s[26:27]
	s_andn2_b64 exec, exec, s[26:27]
	s_cbranch_execz .LBB11_65
.LBB11_59:                              ; =>This Loop Header: Depth=1
                                        ;     Child Loop BB11_62 Depth 2
	s_or_b64 s[24:25], s[24:25], exec
	s_cmp_eq_u32 s35, 0
	s_cbranch_scc1 .LBB11_64
; %bb.60:                               ;   in Loop: Header=BB11_59 Depth=1
	s_add_i32 s35, s35, -1
	v_lshl_add_u32 v6, s35, 8, v2
	v_lshlrev_b64 v[10:11], 2, v[6:7]
	v_add_co_u32_e64 v10, s[24:25], s72, v10
	v_addc_co_u32_e64 v11, s[24:25], v3, v11, s[24:25]
	global_load_dword v14, v[10:11], off glc
	s_waitcnt vmcnt(0)
	v_and_b32_e32 v6, -2.0, v14
	v_cmp_eq_u32_e64 s[24:25], 0, v6
	s_and_saveexec_b64 s[28:29], s[24:25]
	s_cbranch_execz .LBB11_58
; %bb.61:                               ;   in Loop: Header=BB11_59 Depth=1
	s_mov_b64 s[30:31], 0
.LBB11_62:                              ;   Parent Loop BB11_59 Depth=1
                                        ; =>  This Inner Loop Header: Depth=2
	global_load_dword v14, v[10:11], off glc
	s_waitcnt vmcnt(0)
	v_and_b32_e32 v6, -2.0, v14
	v_cmp_ne_u32_e64 s[24:25], 0, v6
	s_or_b64 s[30:31], s[24:25], s[30:31]
	s_andn2_b64 exec, exec, s[30:31]
	s_cbranch_execnz .LBB11_62
; %bb.63:                               ;   in Loop: Header=BB11_59 Depth=1
	s_or_b64 exec, exec, s[30:31]
	s_branch .LBB11_58
.LBB11_64:                              ;   in Loop: Header=BB11_59 Depth=1
                                        ; implicit-def: $sgpr35
	s_and_b64 s[28:29], exec, s[24:25]
	s_or_b64 s[26:27], s[28:29], s[26:27]
	s_andn2_b64 exec, exec, s[26:27]
	s_cbranch_execnz .LBB11_59
.LBB11_65:
	s_or_b64 exec, exec, s[26:27]
	v_add_u32_e32 v3, v5, v32
	v_or_b32_e32 v3, 0x80000000, v3
	global_store_dword v[8:9], v3, off
	v_lshlrev_b32_e32 v33, 3, v2
	global_load_dwordx2 v[6:7], v33, s[64:65]
	v_sub_co_u32_e64 v8, s[24:25], v5, v4
	v_subb_co_u32_e64 v9, s[24:25], 0, 0, s[24:25]
	v_mov_b32_e32 v3, 0
	v_mov_b32_e32 v5, v3
	s_waitcnt vmcnt(0)
	v_add_co_u32_e64 v6, s[24:25], v8, v6
	v_addc_co_u32_e64 v7, s[24:25], v9, v7, s[24:25]
	v_cmp_gt_u32_e64 s[24:25], s70, v2
	ds_write_b64 v33, v[6:7]
	s_waitcnt lgkmcnt(0)
	s_barrier
	s_and_saveexec_b64 s[28:29], s[24:25]
	s_cbranch_execz .LBB11_67
; %bb.66:
	v_mad_i32_i24 v6, v2, -6, v33
	ds_read_u16 v8, v6 offset:2048
	s_movk_i32 s26, 0x8000
	v_mov_b32_e32 v9, 0x7fff
	v_mov_b32_e32 v10, s59
	s_waitcnt lgkmcnt(0)
	v_cmp_ne_u16_e64 s[26:27], s26, v8
	v_cndmask_b32_e64 v6, v9, v8, s[26:27]
	v_lshrrev_b32_sdwa v6, s68, v6 dst_sel:DWORD dst_unused:UNUSED_PAD src0_sel:DWORD src1_sel:WORD_0
	v_and_b32_e32 v6, s74, v6
	v_lshlrev_b32_e32 v6, 3, v6
	ds_read_b64 v[6:7], v6
	v_cmp_gt_i16_e64 s[26:27], 0, v8
	v_cndmask_b32_e64 v9, v9, 0, s[26:27]
	v_xor_b32_e32 v8, v9, v8
	v_lshlrev_b32_e32 v9, 1, v2
	s_waitcnt lgkmcnt(0)
	v_lshlrev_b64 v[6:7], 1, v[6:7]
	v_add_co_u32_e64 v6, s[26:27], s58, v6
	v_addc_co_u32_e64 v7, s[26:27], v10, v7, s[26:27]
	v_add_co_u32_e64 v6, s[26:27], v6, v9
	v_addc_co_u32_e64 v7, s[26:27], 0, v7, s[26:27]
	global_store_short v[6:7], v8, off
.LBB11_67:
	s_or_b64 exec, exec, s[28:29]
	v_add_u32_e32 v6, 0x100, v2
	v_cmp_gt_u32_e64 s[26:27], s70, v6
	s_and_saveexec_b64 s[30:31], s[26:27]
	s_cbranch_execz .LBB11_69
; %bb.68:
	v_lshlrev_b32_e32 v8, 1, v2
	ds_read_u16 v9, v8 offset:2560
	s_movk_i32 s28, 0x8000
	v_mov_b32_e32 v10, 0x7fff
	v_mov_b32_e32 v11, s59
	s_waitcnt lgkmcnt(0)
	v_cmp_ne_u16_e64 s[28:29], s28, v9
	v_cndmask_b32_e64 v6, v10, v9, s[28:29]
	v_lshrrev_b32_sdwa v6, s68, v6 dst_sel:DWORD dst_unused:UNUSED_PAD src0_sel:DWORD src1_sel:WORD_0
	v_and_b32_e32 v6, s74, v6
	v_lshlrev_b32_e32 v6, 3, v6
	ds_read_b64 v[6:7], v6
	v_cmp_gt_i16_e64 s[28:29], 0, v9
	v_cndmask_b32_e64 v10, v10, 0, s[28:29]
	v_xor_b32_e32 v9, v10, v9
	s_waitcnt lgkmcnt(0)
	v_lshlrev_b64 v[6:7], 1, v[6:7]
	v_add_co_u32_e64 v6, s[28:29], s58, v6
	v_addc_co_u32_e64 v7, s[28:29], v11, v7, s[28:29]
	v_add_co_u32_e64 v6, s[28:29], v6, v8
	v_addc_co_u32_e64 v7, s[28:29], 0, v7, s[28:29]
	global_store_short v[6:7], v9, off offset:512
.LBB11_69:
	s_or_b64 exec, exec, s[30:31]
	v_add_u32_e32 v46, 0x200, v2
	v_cmp_gt_u32_e64 s[28:29], s70, v46
	s_and_saveexec_b64 s[34:35], s[28:29]
	s_cbranch_execz .LBB11_71
; %bb.70:
	v_lshlrev_b32_e32 v8, 1, v2
	ds_read_u16 v9, v8 offset:3072
	s_movk_i32 s30, 0x8000
	v_mov_b32_e32 v10, 0x7fff
	v_mov_b32_e32 v11, s59
	s_waitcnt lgkmcnt(0)
	v_cmp_ne_u16_e64 s[30:31], s30, v9
	v_cndmask_b32_e64 v6, v10, v9, s[30:31]
	v_lshrrev_b32_sdwa v6, s68, v6 dst_sel:DWORD dst_unused:UNUSED_PAD src0_sel:DWORD src1_sel:WORD_0
	v_and_b32_e32 v6, s74, v6
	v_lshlrev_b32_e32 v6, 3, v6
	ds_read_b64 v[6:7], v6
	v_cmp_gt_i16_e64 s[30:31], 0, v9
	v_cndmask_b32_e64 v10, v10, 0, s[30:31]
	v_xor_b32_e32 v9, v10, v9
	s_waitcnt lgkmcnt(0)
	v_lshlrev_b64 v[6:7], 1, v[6:7]
	v_add_co_u32_e64 v6, s[30:31], s58, v6
	v_addc_co_u32_e64 v7, s[30:31], v11, v7, s[30:31]
	v_add_co_u32_e64 v6, s[30:31], v6, v8
	v_addc_co_u32_e64 v7, s[30:31], 0, v7, s[30:31]
	global_store_short v[6:7], v9, off offset:1024
.LBB11_71:
	;; [unrolled: 29-line block ×3, first 2 shown]
	s_or_b64 exec, exec, s[36:37]
	v_or_b32_e32 v48, 0x400, v2
	v_cmp_gt_u32_e64 s[34:35], s70, v48
	s_and_saveexec_b64 s[38:39], s[34:35]
	s_cbranch_execz .LBB11_75
; %bb.74:
	v_lshlrev_b32_e32 v8, 1, v2
	ds_read_u16 v9, v8 offset:4096
	s_movk_i32 s36, 0x8000
	v_mov_b32_e32 v10, 0x7fff
	v_mov_b32_e32 v11, s59
	s_waitcnt lgkmcnt(0)
	v_cmp_ne_u16_e64 s[36:37], s36, v9
	v_cndmask_b32_e64 v6, v10, v9, s[36:37]
	v_lshrrev_b32_sdwa v6, s68, v6 dst_sel:DWORD dst_unused:UNUSED_PAD src0_sel:DWORD src1_sel:WORD_0
	v_and_b32_e32 v6, s74, v6
	v_lshlrev_b32_e32 v6, 3, v6
	ds_read_b64 v[6:7], v6
	v_cmp_gt_i16_e64 s[36:37], 0, v9
	v_cndmask_b32_e64 v10, v10, 0, s[36:37]
	v_xor_b32_e32 v9, v10, v9
	s_waitcnt lgkmcnt(0)
	v_lshlrev_b64 v[6:7], 1, v[6:7]
	v_add_co_u32_e64 v6, s[36:37], s58, v6
	v_addc_co_u32_e64 v7, s[36:37], v11, v7, s[36:37]
	v_add_co_u32_e64 v6, s[36:37], v6, v8
	v_addc_co_u32_e64 v7, s[36:37], 0, v7, s[36:37]
	global_store_short v[6:7], v9, off offset:2048
.LBB11_75:
	s_or_b64 exec, exec, s[38:39]
	v_add_u32_e32 v49, 0x500, v2
	v_cmp_gt_u32_e64 s[36:37], s70, v49
	s_and_saveexec_b64 s[40:41], s[36:37]
	s_cbranch_execz .LBB11_77
; %bb.76:
	v_lshlrev_b32_e32 v8, 1, v2
	ds_read_u16 v9, v8 offset:4608
	s_movk_i32 s38, 0x8000
	v_mov_b32_e32 v10, 0x7fff
	v_mov_b32_e32 v11, s59
	s_waitcnt lgkmcnt(0)
	v_cmp_ne_u16_e64 s[38:39], s38, v9
	v_cndmask_b32_e64 v6, v10, v9, s[38:39]
	v_lshrrev_b32_sdwa v6, s68, v6 dst_sel:DWORD dst_unused:UNUSED_PAD src0_sel:DWORD src1_sel:WORD_0
	v_and_b32_e32 v6, s74, v6
	v_lshlrev_b32_e32 v6, 3, v6
	ds_read_b64 v[6:7], v6
	v_cmp_gt_i16_e64 s[38:39], 0, v9
	v_cndmask_b32_e64 v10, v10, 0, s[38:39]
	v_xor_b32_e32 v9, v10, v9
	s_waitcnt lgkmcnt(0)
	v_lshlrev_b64 v[6:7], 1, v[6:7]
	v_add_co_u32_e64 v6, s[38:39], s58, v6
	v_addc_co_u32_e64 v7, s[38:39], v11, v7, s[38:39]
	v_add_co_u32_e64 v6, s[38:39], v6, v8
	v_addc_co_u32_e64 v7, s[38:39], 0, v7, s[38:39]
	global_store_short v[6:7], v9, off offset:2560
.LBB11_77:
	s_or_b64 exec, exec, s[40:41]
	v_add_u32_e32 v50, 0x600, v2
	;; [unrolled: 29-line block ×3, first 2 shown]
	v_cmp_gt_u32_e64 s[40:41], s70, v51
	s_and_saveexec_b64 s[44:45], s[40:41]
	s_cbranch_execz .LBB11_81
; %bb.80:
	v_lshlrev_b32_e32 v8, 1, v2
	ds_read_u16 v9, v8 offset:5632
	s_movk_i32 s42, 0x8000
	v_mov_b32_e32 v10, 0x7fff
	v_mov_b32_e32 v11, s59
	s_waitcnt lgkmcnt(0)
	v_cmp_ne_u16_e64 s[42:43], s42, v9
	v_cndmask_b32_e64 v6, v10, v9, s[42:43]
	v_lshrrev_b32_sdwa v6, s68, v6 dst_sel:DWORD dst_unused:UNUSED_PAD src0_sel:DWORD src1_sel:WORD_0
	v_and_b32_e32 v6, s74, v6
	v_lshlrev_b32_e32 v6, 3, v6
	ds_read_b64 v[6:7], v6
	v_cmp_gt_i16_e64 s[42:43], 0, v9
	v_cndmask_b32_e64 v10, v10, 0, s[42:43]
	v_xor_b32_e32 v9, v10, v9
	s_waitcnt lgkmcnt(0)
	v_lshlrev_b64 v[6:7], 1, v[6:7]
	v_add_co_u32_e64 v6, s[42:43], s58, v6
	v_addc_co_u32_e64 v7, s[42:43], v11, v7, s[42:43]
	v_add_co_u32_e64 v6, s[42:43], v6, v8
	v_addc_co_u32_e64 v7, s[42:43], 0, v7, s[42:43]
	global_store_short v[6:7], v9, off offset:3584
.LBB11_81:
	s_or_b64 exec, exec, s[44:45]
	v_or_b32_e32 v52, 0x800, v2
	v_cmp_gt_u32_e64 s[42:43], s70, v52
	s_and_saveexec_b64 s[46:47], s[42:43]
	s_cbranch_execz .LBB11_83
; %bb.82:
	v_lshlrev_b32_e32 v6, 1, v2
	ds_read_u16 v8, v6 offset:6144
	s_movk_i32 s44, 0x8000
	v_mov_b32_e32 v9, 0x7fff
	v_mov_b32_e32 v10, s59
	s_waitcnt lgkmcnt(0)
	v_cmp_ne_u16_e64 s[44:45], s44, v8
	v_cndmask_b32_e64 v6, v9, v8, s[44:45]
	v_lshrrev_b32_sdwa v6, s68, v6 dst_sel:DWORD dst_unused:UNUSED_PAD src0_sel:DWORD src1_sel:WORD_0
	v_and_b32_e32 v6, s74, v6
	v_lshlrev_b32_e32 v6, 3, v6
	ds_read_b64 v[6:7], v6
	v_cmp_gt_i16_e64 s[44:45], 0, v8
	v_cndmask_b32_e64 v9, v9, 0, s[44:45]
	v_xor_b32_e32 v8, v9, v8
	v_lshlrev_b32_e32 v9, 1, v52
	s_waitcnt lgkmcnt(0)
	v_lshlrev_b64 v[6:7], 1, v[6:7]
	v_add_co_u32_e64 v6, s[44:45], s58, v6
	v_addc_co_u32_e64 v7, s[44:45], v10, v7, s[44:45]
	v_add_co_u32_e64 v6, s[44:45], v6, v9
	v_addc_co_u32_e64 v7, s[44:45], 0, v7, s[44:45]
	global_store_short v[6:7], v8, off
.LBB11_83:
	s_or_b64 exec, exec, s[46:47]
	v_add_u32_e32 v53, 0x900, v2
	v_cmp_gt_u32_e64 s[44:45], s70, v53
	s_and_saveexec_b64 s[48:49], s[44:45]
	s_cbranch_execz .LBB11_85
; %bb.84:
	v_lshlrev_b32_e32 v6, 1, v2
	ds_read_u16 v8, v6 offset:6656
	s_movk_i32 s46, 0x8000
	v_mov_b32_e32 v9, 0x7fff
	v_mov_b32_e32 v10, s59
	s_waitcnt lgkmcnt(0)
	v_cmp_ne_u16_e64 s[46:47], s46, v8
	v_cndmask_b32_e64 v6, v9, v8, s[46:47]
	v_lshrrev_b32_sdwa v6, s68, v6 dst_sel:DWORD dst_unused:UNUSED_PAD src0_sel:DWORD src1_sel:WORD_0
	v_and_b32_e32 v6, s74, v6
	v_lshlrev_b32_e32 v6, 3, v6
	ds_read_b64 v[6:7], v6
	v_cmp_gt_i16_e64 s[46:47], 0, v8
	v_cndmask_b32_e64 v9, v9, 0, s[46:47]
	v_xor_b32_e32 v8, v9, v8
	v_lshlrev_b32_e32 v9, 1, v53
	s_waitcnt lgkmcnt(0)
	v_lshlrev_b64 v[6:7], 1, v[6:7]
	v_add_co_u32_e64 v6, s[46:47], s58, v6
	v_addc_co_u32_e64 v7, s[46:47], v10, v7, s[46:47]
	v_add_co_u32_e64 v6, s[46:47], v6, v9
	v_addc_co_u32_e64 v7, s[46:47], 0, v7, s[46:47]
	global_store_short v[6:7], v8, off
.LBB11_85:
	s_or_b64 exec, exec, s[48:49]
	v_add_u32_e32 v54, 0xa00, v2
	;; [unrolled: 30-line block ×3, first 2 shown]
	v_cmp_gt_u32_e64 s[48:49], s70, v55
	s_and_saveexec_b64 s[70:71], s[48:49]
	s_cbranch_execz .LBB11_89
; %bb.88:
	v_lshlrev_b32_e32 v6, 1, v2
	ds_read_u16 v8, v6 offset:7680
	s_movk_i32 s52, 0x8000
	v_mov_b32_e32 v9, 0x7fff
	v_mov_b32_e32 v10, s59
	s_waitcnt lgkmcnt(0)
	v_cmp_ne_u16_e64 s[52:53], s52, v8
	v_cndmask_b32_e64 v6, v9, v8, s[52:53]
	v_lshrrev_b32_sdwa v6, s68, v6 dst_sel:DWORD dst_unused:UNUSED_PAD src0_sel:DWORD src1_sel:WORD_0
	v_and_b32_e32 v6, s74, v6
	v_lshlrev_b32_e32 v6, 3, v6
	ds_read_b64 v[6:7], v6
	v_cmp_gt_i16_e64 s[52:53], 0, v8
	v_cndmask_b32_e64 v9, v9, 0, s[52:53]
	v_xor_b32_e32 v8, v9, v8
	v_lshlrev_b32_e32 v9, 1, v55
	s_waitcnt lgkmcnt(0)
	v_lshlrev_b64 v[6:7], 1, v[6:7]
	v_add_co_u32_e64 v6, s[52:53], s58, v6
	v_addc_co_u32_e64 v7, s[52:53], v10, v7, s[52:53]
	v_add_co_u32_e64 v6, s[52:53], v6, v9
	v_addc_co_u32_e64 v7, s[52:53], 0, v7, s[52:53]
	global_store_short v[6:7], v8, off
.LBB11_89:
	s_or_b64 exec, exec, s[70:71]
	s_lshl_b64 s[52:53], s[54:55], 3
	s_add_u32 s52, s60, s52
	s_addc_u32 s53, s61, s53
	v_lshlrev_b32_e32 v6, 3, v13
	v_mov_b32_e32 v7, s53
	v_add_co_u32_e64 v6, s[52:53], s52, v6
	v_addc_co_u32_e64 v7, s[52:53], 0, v7, s[52:53]
	v_lshlrev_b32_e32 v8, 3, v12
	v_add_co_u32_e64 v30, s[52:53], v6, v8
	v_addc_co_u32_e64 v31, s[52:53], 0, v7, s[52:53]
                                        ; implicit-def: $vgpr6_vgpr7
	s_and_saveexec_b64 s[52:53], vcc
	s_xor_b64 s[52:53], exec, s[52:53]
	s_cbranch_execnz .LBB11_174
; %bb.90:
	s_or_b64 exec, exec, s[52:53]
                                        ; implicit-def: $vgpr8_vgpr9
	s_and_saveexec_b64 s[52:53], s[0:1]
	s_cbranch_execnz .LBB11_175
.LBB11_91:
	s_or_b64 exec, exec, s[52:53]
                                        ; implicit-def: $vgpr10_vgpr11
	s_and_saveexec_b64 s[0:1], s[2:3]
	s_cbranch_execnz .LBB11_176
.LBB11_92:
	s_or_b64 exec, exec, s[0:1]
                                        ; implicit-def: $vgpr12_vgpr13
	s_and_saveexec_b64 s[0:1], s[50:51]
	s_cbranch_execnz .LBB11_177
.LBB11_93:
	s_or_b64 exec, exec, s[0:1]
                                        ; implicit-def: $vgpr14_vgpr15
	s_and_saveexec_b64 s[0:1], s[8:9]
	s_cbranch_execnz .LBB11_178
.LBB11_94:
	s_or_b64 exec, exec, s[0:1]
                                        ; implicit-def: $vgpr16_vgpr17
	s_and_saveexec_b64 s[0:1], s[12:13]
	s_cbranch_execnz .LBB11_179
.LBB11_95:
	s_or_b64 exec, exec, s[0:1]
                                        ; implicit-def: $vgpr18_vgpr19
	s_and_saveexec_b64 s[0:1], s[16:17]
	s_cbranch_execnz .LBB11_180
.LBB11_96:
	s_or_b64 exec, exec, s[0:1]
                                        ; implicit-def: $vgpr20_vgpr21
	s_and_saveexec_b64 s[0:1], s[20:21]
	s_cbranch_execnz .LBB11_181
.LBB11_97:
	s_or_b64 exec, exec, s[0:1]
                                        ; implicit-def: $vgpr22_vgpr23
	s_and_saveexec_b64 s[0:1], s[22:23]
	s_cbranch_execnz .LBB11_182
.LBB11_98:
	s_or_b64 exec, exec, s[0:1]
                                        ; implicit-def: $vgpr24_vgpr25
	s_and_saveexec_b64 s[0:1], s[18:19]
	s_cbranch_execnz .LBB11_183
.LBB11_99:
	s_or_b64 exec, exec, s[0:1]
                                        ; implicit-def: $vgpr26_vgpr27
	s_and_saveexec_b64 s[0:1], s[14:15]
	s_cbranch_execnz .LBB11_184
.LBB11_100:
	s_or_b64 exec, exec, s[0:1]
                                        ; implicit-def: $vgpr28_vgpr29
	s_and_saveexec_b64 s[0:1], s[10:11]
	s_cbranch_execnz .LBB11_185
.LBB11_101:
	s_or_b64 exec, exec, s[0:1]
                                        ; implicit-def: $vgpr65
	s_and_saveexec_b64 s[0:1], s[24:25]
	s_cbranch_execnz .LBB11_186
.LBB11_102:
	s_or_b64 exec, exec, s[0:1]
                                        ; implicit-def: $vgpr64
	s_and_saveexec_b64 s[0:1], s[26:27]
	s_cbranch_execnz .LBB11_187
.LBB11_103:
	s_or_b64 exec, exec, s[0:1]
                                        ; implicit-def: $vgpr63
	s_and_saveexec_b64 s[0:1], s[28:29]
	s_cbranch_execnz .LBB11_188
.LBB11_104:
	s_or_b64 exec, exec, s[0:1]
                                        ; implicit-def: $vgpr62
	s_and_saveexec_b64 s[0:1], s[30:31]
	s_cbranch_execnz .LBB11_189
.LBB11_105:
	s_or_b64 exec, exec, s[0:1]
                                        ; implicit-def: $vgpr61
	s_and_saveexec_b64 s[0:1], s[34:35]
	s_cbranch_execnz .LBB11_190
.LBB11_106:
	s_or_b64 exec, exec, s[0:1]
                                        ; implicit-def: $vgpr60
	s_and_saveexec_b64 s[0:1], s[36:37]
	s_cbranch_execnz .LBB11_191
.LBB11_107:
	s_or_b64 exec, exec, s[0:1]
                                        ; implicit-def: $vgpr59
	s_and_saveexec_b64 s[0:1], s[38:39]
	s_cbranch_execnz .LBB11_192
.LBB11_108:
	s_or_b64 exec, exec, s[0:1]
                                        ; implicit-def: $vgpr58
	s_and_saveexec_b64 s[0:1], s[40:41]
	s_cbranch_execnz .LBB11_193
.LBB11_109:
	s_or_b64 exec, exec, s[0:1]
                                        ; implicit-def: $vgpr57
	s_and_saveexec_b64 s[0:1], s[42:43]
	s_cbranch_execz .LBB11_111
.LBB11_110:
	v_lshlrev_b32_e32 v30, 1, v2
	ds_read_u16 v30, v30 offset:6144
	s_movk_i32 s2, 0x8000
	v_mov_b32_e32 v31, 0x7fff
	s_waitcnt lgkmcnt(0)
	v_cmp_ne_u16_e32 vcc, s2, v30
	v_cndmask_b32_e32 v30, v31, v30, vcc
	v_lshrrev_b32_sdwa v30, s68, v30 dst_sel:DWORD dst_unused:UNUSED_PAD src0_sel:DWORD src1_sel:WORD_0
	v_and_b32_e32 v57, s74, v30
.LBB11_111:
	s_or_b64 exec, exec, s[0:1]
	v_mov_b32_e32 v30, 0
	v_mov_b32_e32 v56, 0
	s_and_saveexec_b64 s[0:1], s[44:45]
	s_cbranch_execnz .LBB11_194
; %bb.112:
	s_or_b64 exec, exec, s[0:1]
	s_and_saveexec_b64 s[0:1], s[46:47]
	s_cbranch_execnz .LBB11_195
.LBB11_113:
	s_or_b64 exec, exec, s[0:1]
	v_mov_b32_e32 v31, 0
	s_and_saveexec_b64 s[0:1], s[48:49]
	s_cbranch_execz .LBB11_115
.LBB11_114:
	v_lshlrev_b32_e32 v31, 1, v2
	ds_read_u16 v31, v31 offset:7680
	s_movk_i32 s2, 0x8000
	v_mov_b32_e32 v66, 0x7fff
	s_waitcnt lgkmcnt(0)
	v_cmp_ne_u16_e32 vcc, s2, v31
	v_cndmask_b32_e32 v31, v66, v31, vcc
	v_lshrrev_b32_sdwa v31, s68, v31 dst_sel:DWORD dst_unused:UNUSED_PAD src0_sel:DWORD src1_sel:WORD_0
	v_and_b32_e32 v31, s74, v31
.LBB11_115:
	s_or_b64 exec, exec, s[0:1]
	v_lshlrev_b32_e32 v45, 3, v45
	s_barrier
	s_waitcnt vmcnt(0)
	ds_write_b64 v45, v[6:7] offset:2048
	v_lshlrev_b32_e32 v6, 3, v44
	ds_write_b64 v6, v[8:9] offset:2048
	v_lshlrev_b32_e32 v6, 3, v43
	;; [unrolled: 2-line block ×11, first 2 shown]
	ds_write_b64 v6, v[28:29] offset:2048
	s_waitcnt lgkmcnt(0)
	s_barrier
	s_and_saveexec_b64 s[0:1], s[24:25]
	s_cbranch_execnz .LBB11_196
; %bb.116:
	s_or_b64 exec, exec, s[0:1]
	s_and_saveexec_b64 s[0:1], s[26:27]
	s_cbranch_execnz .LBB11_197
.LBB11_117:
	s_or_b64 exec, exec, s[0:1]
	s_and_saveexec_b64 s[0:1], s[28:29]
	s_cbranch_execnz .LBB11_198
.LBB11_118:
	s_or_b64 exec, exec, s[0:1]
	s_and_saveexec_b64 s[0:1], s[30:31]
	s_cbranch_execnz .LBB11_199
.LBB11_119:
	s_or_b64 exec, exec, s[0:1]
	s_and_saveexec_b64 s[0:1], s[34:35]
	s_cbranch_execnz .LBB11_200
.LBB11_120:
	s_or_b64 exec, exec, s[0:1]
	s_and_saveexec_b64 s[0:1], s[36:37]
	s_cbranch_execnz .LBB11_201
.LBB11_121:
	s_or_b64 exec, exec, s[0:1]
	s_and_saveexec_b64 s[0:1], s[38:39]
	s_cbranch_execnz .LBB11_202
.LBB11_122:
	s_or_b64 exec, exec, s[0:1]
	s_and_saveexec_b64 s[0:1], s[40:41]
	s_cbranch_execnz .LBB11_203
.LBB11_123:
	s_or_b64 exec, exec, s[0:1]
	s_and_saveexec_b64 s[0:1], s[42:43]
	s_cbranch_execnz .LBB11_204
.LBB11_124:
	s_or_b64 exec, exec, s[0:1]
	s_and_saveexec_b64 s[0:1], s[44:45]
	s_cbranch_execnz .LBB11_205
.LBB11_125:
	s_or_b64 exec, exec, s[0:1]
	s_and_saveexec_b64 s[0:1], s[46:47]
	s_cbranch_execnz .LBB11_206
.LBB11_126:
	s_or_b64 exec, exec, s[0:1]
	s_and_saveexec_b64 s[0:1], s[48:49]
	s_cbranch_execz .LBB11_128
.LBB11_127:
	v_lshlrev_b32_e32 v6, 3, v31
	ds_read_b64 v[6:7], v6
	v_lshlrev_b32_e32 v8, 3, v2
	ds_read_b64 v[8:9], v8 offset:24576
	v_mov_b32_e32 v10, s63
	s_waitcnt lgkmcnt(1)
	v_lshlrev_b64 v[6:7], 3, v[6:7]
	v_add_co_u32_e32 v6, vcc, s62, v6
	v_addc_co_u32_e32 v7, vcc, v10, v7, vcc
	v_lshlrev_b32_e32 v10, 3, v55
	v_add_co_u32_e32 v6, vcc, v6, v10
	v_addc_co_u32_e32 v7, vcc, 0, v7, vcc
	s_waitcnt lgkmcnt(0)
	global_store_dwordx2 v[6:7], v[8:9], off
.LBB11_128:
	s_or_b64 exec, exec, s[0:1]
	s_add_i32 s33, s33, -1
	s_cmp_eq_u32 s6, s33
	s_cselect_b64 s[0:1], -1, 0
	s_branch .LBB11_171
.LBB11_129:
	s_mov_b64 s[0:1], 0
                                        ; implicit-def: $vgpr33
                                        ; implicit-def: $vgpr2_vgpr3
                                        ; implicit-def: $vgpr4_vgpr5
                                        ; implicit-def: $vgpr32
	s_cbranch_execz .LBB11_171
; %bb.130:
	s_mov_b32 s55, 0
	s_lshl_b64 s[0:1], s[54:55], 1
	v_mbcnt_hi_u32_b32 v11, -1, v1
	s_add_u32 s0, s56, s0
	v_lshlrev_b32_e32 v1, 1, v11
	v_and_b32_e32 v2, 0x3ff, v0
	v_add_co_u32_e32 v1, vcc, s0, v1
	s_load_dword s8, s[4:5], 0x50
	s_load_dword s0, s[4:5], 0x5c
	s_addc_u32 s1, s57, s1
	v_and_b32_e32 v7, 0xc0, v2
	v_mul_u32_u24_e32 v10, 12, v7
	v_mov_b32_e32 v3, s1
	v_addc_co_u32_e32 v3, vcc, 0, v3, vcc
	v_lshlrev_b32_e32 v5, 1, v10
	v_add_co_u32_e32 v8, vcc, v1, v5
	s_add_u32 s1, s4, 0x50
	v_addc_co_u32_e32 v9, vcc, 0, v3, vcc
	s_addc_u32 s2, s5, 0
	s_waitcnt lgkmcnt(0)
	s_lshr_b32 s3, s0, 16
	global_load_ushort v1, v[8:9], off
	s_cmp_lt_u32 s6, s8
	s_cselect_b32 s0, 12, 18
	s_add_u32 s0, s1, s0
	v_mov_b32_e32 v4, 0
	s_addc_u32 s1, s2, 0
	global_load_ushort v5, v4, s[0:1]
	v_mul_u32_u24_e32 v6, 5, v2
	v_lshlrev_b32_e32 v6, 2, v6
	ds_write2_b32 v6, v4, v4 offset0:4 offset1:5
	ds_write2_b32 v6, v4, v4 offset0:6 offset1:7
	ds_write_b32 v6, v4 offset:32
	global_load_ushort v12, v[8:9], off offset:128
	global_load_ushort v16, v[8:9], off offset:256
	;; [unrolled: 1-line block ×11, first 2 shown]
	v_mov_b32_e32 v13, 0x7fff
	v_bfe_u32 v3, v0, 10, 10
	v_bfe_u32 v0, v0, 20, 10
	v_mad_u32_u24 v0, v0, s3, v3
	s_movk_i32 s2, 0x8000
	s_lshl_b32 s0, -1, s69
	s_not_b32 s9, s0
	s_waitcnt lgkmcnt(0)
	s_barrier
	s_waitcnt lgkmcnt(0)
	; wave barrier
	s_waitcnt vmcnt(12)
	v_cmp_gt_i16_e32 vcc, 0, v1
	v_cndmask_b32_e64 v3, v13, 0, vcc
	v_xor_b32_e32 v3, v3, v1
	v_cmp_ne_u16_e32 vcc, s2, v3
	v_cndmask_b32_e32 v8, v13, v3, vcc
	s_waitcnt vmcnt(11)
	v_mad_u64_u32 v[0:1], s[0:1], v0, v5, v[2:3]
	v_lshrrev_b32_sdwa v1, s68, v8 dst_sel:DWORD dst_unused:UNUSED_PAD src0_sel:DWORD src1_sel:WORD_0
	v_lshrrev_b32_e32 v18, 6, v0
	v_and_b32_e32 v0, s9, v1
	v_mul_u32_u24_e32 v1, 5, v0
	v_and_b32_e32 v9, 1, v0
	v_add_lshl_u32 v8, v18, v1, 2
	v_add_co_u32_e32 v1, vcc, -1, v9
	v_lshlrev_b32_e32 v5, 30, v0
	v_addc_co_u32_e64 v14, s[0:1], 0, -1, vcc
	v_cmp_ne_u32_e32 vcc, 0, v9
	v_cmp_gt_i64_e64 s[0:1], 0, v[4:5]
	v_not_b32_e32 v9, v5
	v_lshlrev_b32_e32 v5, 29, v0
	v_xor_b32_e32 v14, vcc_hi, v14
	v_xor_b32_e32 v1, vcc_lo, v1
	v_ashrrev_i32_e32 v9, 31, v9
	v_cmp_gt_i64_e32 vcc, 0, v[4:5]
	v_not_b32_e32 v15, v5
	v_lshlrev_b32_e32 v5, 28, v0
	v_and_b32_e32 v14, exec_hi, v14
	v_and_b32_e32 v1, exec_lo, v1
	v_xor_b32_e32 v19, s1, v9
	v_xor_b32_e32 v9, s0, v9
	v_ashrrev_i32_e32 v15, 31, v15
	v_cmp_gt_i64_e64 s[0:1], 0, v[4:5]
	v_not_b32_e32 v5, v5
	v_and_b32_e32 v14, v14, v19
	v_and_b32_e32 v1, v1, v9
	v_xor_b32_e32 v9, vcc_hi, v15
	v_xor_b32_e32 v15, vcc_lo, v15
	v_ashrrev_i32_e32 v5, 31, v5
	v_and_b32_e32 v9, v14, v9
	v_and_b32_e32 v1, v1, v15
	v_xor_b32_e32 v14, s1, v5
	v_xor_b32_e32 v5, s0, v5
	v_and_b32_e32 v1, v1, v5
	v_lshlrev_b32_e32 v5, 27, v0
	v_cmp_gt_i64_e32 vcc, 0, v[4:5]
	v_not_b32_e32 v5, v5
	v_ashrrev_i32_e32 v5, 31, v5
	v_and_b32_e32 v9, v9, v14
	v_xor_b32_e32 v14, vcc_hi, v5
	v_xor_b32_e32 v5, vcc_lo, v5
	v_and_b32_e32 v1, v1, v5
	v_lshlrev_b32_e32 v5, 26, v0
	v_cmp_gt_i64_e32 vcc, 0, v[4:5]
	v_not_b32_e32 v5, v5
	v_ashrrev_i32_e32 v5, 31, v5
	v_and_b32_e32 v9, v9, v14
	v_xor_b32_e32 v14, vcc_hi, v5
	v_xor_b32_e32 v5, vcc_lo, v5
	;; [unrolled: 8-line block ×3, first 2 shown]
	v_and_b32_e32 v9, v9, v14
	v_and_b32_e32 v14, v1, v5
	v_lshlrev_b32_e32 v5, 24, v0
	v_not_b32_e32 v0, v5
	v_cmp_gt_i64_e32 vcc, 0, v[4:5]
	v_ashrrev_i32_e32 v0, 31, v0
	v_xor_b32_e32 v1, vcc_hi, v0
	v_xor_b32_e32 v0, vcc_lo, v0
	v_and_b32_e32 v0, v14, v0
	v_and_b32_e32 v1, v9, v1
	v_mbcnt_lo_u32_b32 v5, v0, 0
	v_mbcnt_hi_u32_b32 v9, v1, v5
	v_cmp_eq_u32_e32 vcc, 0, v9
	v_cmp_ne_u64_e64 s[0:1], 0, v[0:1]
	s_and_b64 s[4:5], s[0:1], vcc
	s_and_saveexec_b64 s[0:1], s[4:5]
	s_cbranch_execz .LBB11_132
; %bb.131:
	v_bcnt_u32_b32 v0, v0, 0
	v_bcnt_u32_b32 v0, v1, v0
	ds_write_b32 v8, v0 offset:16
.LBB11_132:
	s_or_b64 exec, exec, s[0:1]
	s_waitcnt vmcnt(10)
	v_cmp_gt_i16_e32 vcc, 0, v12
	v_cndmask_b32_e64 v0, v13, 0, vcc
	v_xor_b32_e32 v12, v0, v12
	v_cmp_ne_u16_e32 vcc, s2, v12
	v_cndmask_b32_e32 v0, v13, v12, vcc
	v_lshrrev_b32_sdwa v0, s68, v0 dst_sel:DWORD dst_unused:UNUSED_PAD src0_sel:DWORD src1_sel:WORD_0
	v_and_b32_e32 v0, s9, v0
	v_mul_u32_u24_e32 v1, 5, v0
	v_add_lshl_u32 v14, v18, v1, 2
	v_and_b32_e32 v1, 1, v0
	v_add_co_u32_e32 v5, vcc, -1, v1
	v_addc_co_u32_e64 v15, s[0:1], 0, -1, vcc
	v_cmp_ne_u32_e32 vcc, 0, v1
	v_xor_b32_e32 v5, vcc_lo, v5
	v_xor_b32_e32 v1, vcc_hi, v15
	v_and_b32_e32 v15, exec_lo, v5
	v_lshlrev_b32_e32 v5, 30, v0
	v_cmp_gt_i64_e32 vcc, 0, v[4:5]
	v_not_b32_e32 v5, v5
	v_ashrrev_i32_e32 v5, 31, v5
	v_xor_b32_e32 v19, vcc_hi, v5
	v_xor_b32_e32 v5, vcc_lo, v5
	v_and_b32_e32 v15, v15, v5
	v_lshlrev_b32_e32 v5, 29, v0
	v_cmp_gt_i64_e32 vcc, 0, v[4:5]
	v_not_b32_e32 v5, v5
	v_and_b32_e32 v1, exec_hi, v1
	v_ashrrev_i32_e32 v5, 31, v5
	v_and_b32_e32 v1, v1, v19
	v_xor_b32_e32 v19, vcc_hi, v5
	v_xor_b32_e32 v5, vcc_lo, v5
	v_and_b32_e32 v15, v15, v5
	v_lshlrev_b32_e32 v5, 28, v0
	v_cmp_gt_i64_e32 vcc, 0, v[4:5]
	v_not_b32_e32 v5, v5
	v_ashrrev_i32_e32 v5, 31, v5
	v_and_b32_e32 v1, v1, v19
	v_xor_b32_e32 v19, vcc_hi, v5
	v_xor_b32_e32 v5, vcc_lo, v5
	v_and_b32_e32 v15, v15, v5
	v_lshlrev_b32_e32 v5, 27, v0
	v_cmp_gt_i64_e32 vcc, 0, v[4:5]
	v_not_b32_e32 v5, v5
	;; [unrolled: 8-line block ×4, first 2 shown]
	v_ashrrev_i32_e32 v5, 31, v5
	v_and_b32_e32 v1, v1, v19
	v_xor_b32_e32 v19, vcc_hi, v5
	v_xor_b32_e32 v5, vcc_lo, v5
	v_and_b32_e32 v15, v15, v5
	v_lshlrev_b32_e32 v5, 24, v0
	v_not_b32_e32 v0, v5
	v_cmp_gt_i64_e32 vcc, 0, v[4:5]
	v_ashrrev_i32_e32 v0, 31, v0
	v_xor_b32_e32 v4, vcc_hi, v0
	v_xor_b32_e32 v0, vcc_lo, v0
	; wave barrier
	ds_read_b32 v13, v14 offset:16
	v_and_b32_e32 v1, v1, v19
	v_and_b32_e32 v0, v15, v0
	;; [unrolled: 1-line block ×3, first 2 shown]
	v_mbcnt_lo_u32_b32 v4, v0, 0
	v_mbcnt_hi_u32_b32 v15, v1, v4
	v_cmp_eq_u32_e32 vcc, 0, v15
	v_cmp_ne_u64_e64 s[0:1], 0, v[0:1]
	s_and_b64 s[2:3], s[0:1], vcc
	; wave barrier
	s_and_saveexec_b64 s[0:1], s[2:3]
	s_cbranch_execz .LBB11_134
; %bb.133:
	v_bcnt_u32_b32 v0, v0, 0
	v_bcnt_u32_b32 v0, v1, v0
	s_waitcnt lgkmcnt(0)
	v_add_u32_e32 v0, v13, v0
	ds_write_b32 v14, v0 offset:16
.LBB11_134:
	s_or_b64 exec, exec, s[0:1]
	v_mov_b32_e32 v24, 0x7fff
	s_waitcnt vmcnt(9)
	v_cmp_gt_i16_e32 vcc, 0, v16
	v_cndmask_b32_e64 v1, v24, 0, vcc
	v_xor_b32_e32 v16, v1, v16
	s_movk_i32 s2, 0x8000
	v_cmp_ne_u16_e32 vcc, s2, v16
	v_cndmask_b32_e32 v1, v24, v16, vcc
	v_lshrrev_b32_sdwa v1, s68, v1 dst_sel:DWORD dst_unused:UNUSED_PAD src0_sel:DWORD src1_sel:WORD_0
	v_and_b32_e32 v4, s9, v1
	v_mul_u32_u24_e32 v1, 5, v4
	v_add_lshl_u32 v20, v18, v1, 2
	v_and_b32_e32 v1, 1, v4
	v_add_co_u32_e32 v5, vcc, -1, v1
	v_addc_co_u32_e64 v22, s[0:1], 0, -1, vcc
	v_cmp_ne_u32_e32 vcc, 0, v1
	v_xor_b32_e32 v1, vcc_hi, v22
	v_mov_b32_e32 v0, 0
	v_and_b32_e32 v22, exec_hi, v1
	v_lshlrev_b32_e32 v1, 30, v4
	v_xor_b32_e32 v5, vcc_lo, v5
	v_cmp_gt_i64_e32 vcc, 0, v[0:1]
	v_not_b32_e32 v1, v1
	v_ashrrev_i32_e32 v1, 31, v1
	v_and_b32_e32 v5, exec_lo, v5
	v_xor_b32_e32 v25, vcc_hi, v1
	v_xor_b32_e32 v1, vcc_lo, v1
	v_and_b32_e32 v5, v5, v1
	v_lshlrev_b32_e32 v1, 29, v4
	v_cmp_gt_i64_e32 vcc, 0, v[0:1]
	v_not_b32_e32 v1, v1
	v_ashrrev_i32_e32 v1, 31, v1
	v_and_b32_e32 v22, v22, v25
	v_xor_b32_e32 v25, vcc_hi, v1
	v_xor_b32_e32 v1, vcc_lo, v1
	v_and_b32_e32 v5, v5, v1
	v_lshlrev_b32_e32 v1, 28, v4
	v_cmp_gt_i64_e32 vcc, 0, v[0:1]
	v_not_b32_e32 v1, v1
	v_ashrrev_i32_e32 v1, 31, v1
	v_and_b32_e32 v22, v22, v25
	;; [unrolled: 8-line block ×5, first 2 shown]
	v_xor_b32_e32 v25, vcc_hi, v1
	v_xor_b32_e32 v1, vcc_lo, v1
	v_and_b32_e32 v22, v22, v25
	v_and_b32_e32 v25, v5, v1
	v_lshlrev_b32_e32 v1, 24, v4
	v_cmp_gt_i64_e32 vcc, 0, v[0:1]
	v_not_b32_e32 v1, v1
	v_ashrrev_i32_e32 v1, 31, v1
	v_xor_b32_e32 v4, vcc_hi, v1
	v_xor_b32_e32 v1, vcc_lo, v1
	; wave barrier
	ds_read_b32 v19, v20 offset:16
	v_and_b32_e32 v5, v22, v4
	v_and_b32_e32 v4, v25, v1
	v_mbcnt_lo_u32_b32 v1, v4, 0
	v_mbcnt_hi_u32_b32 v22, v5, v1
	v_cmp_eq_u32_e32 vcc, 0, v22
	v_cmp_ne_u64_e64 s[0:1], 0, v[4:5]
	s_and_b64 s[4:5], s[0:1], vcc
	; wave barrier
	s_and_saveexec_b64 s[0:1], s[4:5]
	s_cbranch_execz .LBB11_136
; %bb.135:
	v_bcnt_u32_b32 v1, v4, 0
	v_bcnt_u32_b32 v1, v5, v1
	s_waitcnt lgkmcnt(0)
	v_add_u32_e32 v1, v19, v1
	ds_write_b32 v20, v1 offset:16
.LBB11_136:
	s_or_b64 exec, exec, s[0:1]
	s_waitcnt vmcnt(8)
	v_cmp_gt_i16_e32 vcc, 0, v21
	v_cndmask_b32_e64 v1, v24, 0, vcc
	v_xor_b32_e32 v21, v1, v21
	v_cmp_ne_u16_e32 vcc, s2, v21
	v_cndmask_b32_e32 v1, v24, v21, vcc
	v_lshrrev_b32_sdwa v1, s68, v1 dst_sel:DWORD dst_unused:UNUSED_PAD src0_sel:DWORD src1_sel:WORD_0
	v_and_b32_e32 v4, s9, v1
	v_mul_u32_u24_e32 v1, 5, v4
	v_add_lshl_u32 v25, v18, v1, 2
	v_and_b32_e32 v1, 1, v4
	v_add_co_u32_e32 v5, vcc, -1, v1
	v_addc_co_u32_e64 v26, s[0:1], 0, -1, vcc
	v_cmp_ne_u32_e32 vcc, 0, v1
	v_xor_b32_e32 v1, vcc_hi, v26
	v_and_b32_e32 v26, exec_hi, v1
	v_lshlrev_b32_e32 v1, 30, v4
	v_xor_b32_e32 v5, vcc_lo, v5
	v_cmp_gt_i64_e32 vcc, 0, v[0:1]
	v_not_b32_e32 v1, v1
	v_ashrrev_i32_e32 v1, 31, v1
	v_and_b32_e32 v5, exec_lo, v5
	v_xor_b32_e32 v29, vcc_hi, v1
	v_xor_b32_e32 v1, vcc_lo, v1
	v_and_b32_e32 v5, v5, v1
	v_lshlrev_b32_e32 v1, 29, v4
	v_cmp_gt_i64_e32 vcc, 0, v[0:1]
	v_not_b32_e32 v1, v1
	v_ashrrev_i32_e32 v1, 31, v1
	v_and_b32_e32 v26, v26, v29
	v_xor_b32_e32 v29, vcc_hi, v1
	v_xor_b32_e32 v1, vcc_lo, v1
	v_and_b32_e32 v5, v5, v1
	v_lshlrev_b32_e32 v1, 28, v4
	v_cmp_gt_i64_e32 vcc, 0, v[0:1]
	v_not_b32_e32 v1, v1
	v_ashrrev_i32_e32 v1, 31, v1
	v_and_b32_e32 v26, v26, v29
	;; [unrolled: 8-line block ×5, first 2 shown]
	v_xor_b32_e32 v29, vcc_hi, v1
	v_xor_b32_e32 v1, vcc_lo, v1
	v_and_b32_e32 v5, v5, v1
	v_lshlrev_b32_e32 v1, 24, v4
	v_cmp_gt_i64_e32 vcc, 0, v[0:1]
	v_not_b32_e32 v0, v1
	v_ashrrev_i32_e32 v0, 31, v0
	v_xor_b32_e32 v1, vcc_hi, v0
	v_xor_b32_e32 v0, vcc_lo, v0
	; wave barrier
	ds_read_b32 v24, v25 offset:16
	v_and_b32_e32 v26, v26, v29
	v_and_b32_e32 v0, v5, v0
	v_and_b32_e32 v1, v26, v1
	v_mbcnt_lo_u32_b32 v4, v0, 0
	v_mbcnt_hi_u32_b32 v26, v1, v4
	v_cmp_eq_u32_e32 vcc, 0, v26
	v_cmp_ne_u64_e64 s[0:1], 0, v[0:1]
	s_and_b64 s[2:3], s[0:1], vcc
	; wave barrier
	s_and_saveexec_b64 s[0:1], s[2:3]
	s_cbranch_execz .LBB11_138
; %bb.137:
	v_bcnt_u32_b32 v0, v0, 0
	v_bcnt_u32_b32 v0, v1, v0
	s_waitcnt lgkmcnt(0)
	v_add_u32_e32 v0, v24, v0
	ds_write_b32 v25, v0 offset:16
.LBB11_138:
	s_or_b64 exec, exec, s[0:1]
	v_mov_b32_e32 v34, 0x7fff
	s_waitcnt vmcnt(7)
	v_cmp_gt_i16_e32 vcc, 0, v27
	v_cndmask_b32_e64 v1, v34, 0, vcc
	v_xor_b32_e32 v27, v1, v27
	s_movk_i32 s2, 0x8000
	v_cmp_ne_u16_e32 vcc, s2, v27
	v_cndmask_b32_e32 v1, v34, v27, vcc
	v_lshrrev_b32_sdwa v1, s68, v1 dst_sel:DWORD dst_unused:UNUSED_PAD src0_sel:DWORD src1_sel:WORD_0
	v_and_b32_e32 v4, s9, v1
	v_mul_u32_u24_e32 v1, 5, v4
	v_add_lshl_u32 v30, v18, v1, 2
	v_and_b32_e32 v1, 1, v4
	v_add_co_u32_e32 v5, vcc, -1, v1
	v_addc_co_u32_e64 v32, s[0:1], 0, -1, vcc
	v_cmp_ne_u32_e32 vcc, 0, v1
	v_xor_b32_e32 v1, vcc_hi, v32
	v_mov_b32_e32 v0, 0
	v_and_b32_e32 v32, exec_hi, v1
	v_lshlrev_b32_e32 v1, 30, v4
	v_xor_b32_e32 v5, vcc_lo, v5
	v_cmp_gt_i64_e32 vcc, 0, v[0:1]
	v_not_b32_e32 v1, v1
	v_ashrrev_i32_e32 v1, 31, v1
	v_and_b32_e32 v5, exec_lo, v5
	v_xor_b32_e32 v35, vcc_hi, v1
	v_xor_b32_e32 v1, vcc_lo, v1
	v_and_b32_e32 v5, v5, v1
	v_lshlrev_b32_e32 v1, 29, v4
	v_cmp_gt_i64_e32 vcc, 0, v[0:1]
	v_not_b32_e32 v1, v1
	v_ashrrev_i32_e32 v1, 31, v1
	v_and_b32_e32 v32, v32, v35
	v_xor_b32_e32 v35, vcc_hi, v1
	v_xor_b32_e32 v1, vcc_lo, v1
	v_and_b32_e32 v5, v5, v1
	v_lshlrev_b32_e32 v1, 28, v4
	v_cmp_gt_i64_e32 vcc, 0, v[0:1]
	v_not_b32_e32 v1, v1
	v_ashrrev_i32_e32 v1, 31, v1
	v_and_b32_e32 v32, v32, v35
	;; [unrolled: 8-line block ×5, first 2 shown]
	v_xor_b32_e32 v35, vcc_hi, v1
	v_xor_b32_e32 v1, vcc_lo, v1
	v_and_b32_e32 v32, v32, v35
	v_and_b32_e32 v35, v5, v1
	v_lshlrev_b32_e32 v1, 24, v4
	v_cmp_gt_i64_e32 vcc, 0, v[0:1]
	v_not_b32_e32 v1, v1
	v_ashrrev_i32_e32 v1, 31, v1
	v_xor_b32_e32 v4, vcc_hi, v1
	v_xor_b32_e32 v1, vcc_lo, v1
	; wave barrier
	ds_read_b32 v29, v30 offset:16
	v_and_b32_e32 v5, v32, v4
	v_and_b32_e32 v4, v35, v1
	v_mbcnt_lo_u32_b32 v1, v4, 0
	v_mbcnt_hi_u32_b32 v32, v5, v1
	v_cmp_eq_u32_e32 vcc, 0, v32
	v_cmp_ne_u64_e64 s[0:1], 0, v[4:5]
	s_and_b64 s[4:5], s[0:1], vcc
	; wave barrier
	s_and_saveexec_b64 s[0:1], s[4:5]
	s_cbranch_execz .LBB11_140
; %bb.139:
	v_bcnt_u32_b32 v1, v4, 0
	v_bcnt_u32_b32 v1, v5, v1
	s_waitcnt lgkmcnt(0)
	v_add_u32_e32 v1, v29, v1
	ds_write_b32 v30, v1 offset:16
.LBB11_140:
	s_or_b64 exec, exec, s[0:1]
	s_waitcnt vmcnt(6)
	v_cmp_gt_i16_e32 vcc, 0, v31
	v_cndmask_b32_e64 v1, v34, 0, vcc
	v_xor_b32_e32 v31, v1, v31
	v_cmp_ne_u16_e32 vcc, s2, v31
	v_cndmask_b32_e32 v1, v34, v31, vcc
	v_lshrrev_b32_sdwa v1, s68, v1 dst_sel:DWORD dst_unused:UNUSED_PAD src0_sel:DWORD src1_sel:WORD_0
	v_and_b32_e32 v4, s9, v1
	v_mul_u32_u24_e32 v1, 5, v4
	v_add_lshl_u32 v35, v18, v1, 2
	v_and_b32_e32 v1, 1, v4
	v_add_co_u32_e32 v5, vcc, -1, v1
	v_addc_co_u32_e64 v37, s[0:1], 0, -1, vcc
	v_cmp_ne_u32_e32 vcc, 0, v1
	v_xor_b32_e32 v1, vcc_hi, v37
	v_and_b32_e32 v37, exec_hi, v1
	v_lshlrev_b32_e32 v1, 30, v4
	v_xor_b32_e32 v5, vcc_lo, v5
	v_cmp_gt_i64_e32 vcc, 0, v[0:1]
	v_not_b32_e32 v1, v1
	v_ashrrev_i32_e32 v1, 31, v1
	v_and_b32_e32 v5, exec_lo, v5
	v_xor_b32_e32 v39, vcc_hi, v1
	v_xor_b32_e32 v1, vcc_lo, v1
	v_and_b32_e32 v5, v5, v1
	v_lshlrev_b32_e32 v1, 29, v4
	v_cmp_gt_i64_e32 vcc, 0, v[0:1]
	v_not_b32_e32 v1, v1
	v_ashrrev_i32_e32 v1, 31, v1
	v_and_b32_e32 v37, v37, v39
	v_xor_b32_e32 v39, vcc_hi, v1
	v_xor_b32_e32 v1, vcc_lo, v1
	v_and_b32_e32 v5, v5, v1
	v_lshlrev_b32_e32 v1, 28, v4
	v_cmp_gt_i64_e32 vcc, 0, v[0:1]
	v_not_b32_e32 v1, v1
	v_ashrrev_i32_e32 v1, 31, v1
	v_and_b32_e32 v37, v37, v39
	;; [unrolled: 8-line block ×5, first 2 shown]
	v_xor_b32_e32 v39, vcc_hi, v1
	v_xor_b32_e32 v1, vcc_lo, v1
	v_and_b32_e32 v5, v5, v1
	v_lshlrev_b32_e32 v1, 24, v4
	v_cmp_gt_i64_e32 vcc, 0, v[0:1]
	v_not_b32_e32 v0, v1
	v_ashrrev_i32_e32 v0, 31, v0
	v_xor_b32_e32 v1, vcc_hi, v0
	v_xor_b32_e32 v0, vcc_lo, v0
	; wave barrier
	ds_read_b32 v34, v35 offset:16
	v_and_b32_e32 v37, v37, v39
	v_and_b32_e32 v0, v5, v0
	;; [unrolled: 1-line block ×3, first 2 shown]
	v_mbcnt_lo_u32_b32 v4, v0, 0
	v_mbcnt_hi_u32_b32 v37, v1, v4
	v_cmp_eq_u32_e32 vcc, 0, v37
	v_cmp_ne_u64_e64 s[0:1], 0, v[0:1]
	s_and_b64 s[2:3], s[0:1], vcc
	; wave barrier
	s_and_saveexec_b64 s[0:1], s[2:3]
	s_cbranch_execz .LBB11_142
; %bb.141:
	v_bcnt_u32_b32 v0, v0, 0
	v_bcnt_u32_b32 v0, v1, v0
	s_waitcnt lgkmcnt(0)
	v_add_u32_e32 v0, v34, v0
	ds_write_b32 v35, v0 offset:16
.LBB11_142:
	s_or_b64 exec, exec, s[0:1]
	v_mov_b32_e32 v42, 0x7fff
	s_waitcnt vmcnt(5)
	v_cmp_gt_i16_e32 vcc, 0, v36
	v_cndmask_b32_e64 v1, v42, 0, vcc
	v_xor_b32_e32 v36, v1, v36
	s_movk_i32 s2, 0x8000
	v_cmp_ne_u16_e32 vcc, s2, v36
	v_cndmask_b32_e32 v1, v42, v36, vcc
	v_lshrrev_b32_sdwa v1, s68, v1 dst_sel:DWORD dst_unused:UNUSED_PAD src0_sel:DWORD src1_sel:WORD_0
	v_and_b32_e32 v4, s9, v1
	v_mul_u32_u24_e32 v1, 5, v4
	v_add_lshl_u32 v40, v18, v1, 2
	v_and_b32_e32 v1, 1, v4
	v_add_co_u32_e32 v5, vcc, -1, v1
	v_addc_co_u32_e64 v41, s[0:1], 0, -1, vcc
	v_cmp_ne_u32_e32 vcc, 0, v1
	v_xor_b32_e32 v1, vcc_hi, v41
	v_mov_b32_e32 v0, 0
	v_and_b32_e32 v41, exec_hi, v1
	v_lshlrev_b32_e32 v1, 30, v4
	v_xor_b32_e32 v5, vcc_lo, v5
	v_cmp_gt_i64_e32 vcc, 0, v[0:1]
	v_not_b32_e32 v1, v1
	v_ashrrev_i32_e32 v1, 31, v1
	v_and_b32_e32 v5, exec_lo, v5
	v_xor_b32_e32 v43, vcc_hi, v1
	v_xor_b32_e32 v1, vcc_lo, v1
	v_and_b32_e32 v5, v5, v1
	v_lshlrev_b32_e32 v1, 29, v4
	v_cmp_gt_i64_e32 vcc, 0, v[0:1]
	v_not_b32_e32 v1, v1
	v_ashrrev_i32_e32 v1, 31, v1
	v_and_b32_e32 v41, v41, v43
	v_xor_b32_e32 v43, vcc_hi, v1
	v_xor_b32_e32 v1, vcc_lo, v1
	v_and_b32_e32 v5, v5, v1
	v_lshlrev_b32_e32 v1, 28, v4
	v_cmp_gt_i64_e32 vcc, 0, v[0:1]
	v_not_b32_e32 v1, v1
	v_ashrrev_i32_e32 v1, 31, v1
	v_and_b32_e32 v41, v41, v43
	;; [unrolled: 8-line block ×5, first 2 shown]
	v_xor_b32_e32 v43, vcc_hi, v1
	v_xor_b32_e32 v1, vcc_lo, v1
	v_and_b32_e32 v41, v41, v43
	v_and_b32_e32 v43, v5, v1
	v_lshlrev_b32_e32 v1, 24, v4
	v_cmp_gt_i64_e32 vcc, 0, v[0:1]
	v_not_b32_e32 v1, v1
	v_ashrrev_i32_e32 v1, 31, v1
	v_xor_b32_e32 v4, vcc_hi, v1
	v_xor_b32_e32 v1, vcc_lo, v1
	; wave barrier
	ds_read_b32 v39, v40 offset:16
	v_and_b32_e32 v5, v41, v4
	v_and_b32_e32 v4, v43, v1
	v_mbcnt_lo_u32_b32 v1, v4, 0
	v_mbcnt_hi_u32_b32 v41, v5, v1
	v_cmp_eq_u32_e32 vcc, 0, v41
	v_cmp_ne_u64_e64 s[0:1], 0, v[4:5]
	s_and_b64 s[4:5], s[0:1], vcc
	; wave barrier
	s_and_saveexec_b64 s[0:1], s[4:5]
	s_cbranch_execz .LBB11_144
; %bb.143:
	v_bcnt_u32_b32 v1, v4, 0
	v_bcnt_u32_b32 v1, v5, v1
	s_waitcnt lgkmcnt(0)
	v_add_u32_e32 v1, v39, v1
	ds_write_b32 v40, v1 offset:16
.LBB11_144:
	s_or_b64 exec, exec, s[0:1]
	s_waitcnt vmcnt(4)
	v_cmp_gt_i16_e32 vcc, 0, v38
	v_cndmask_b32_e64 v1, v42, 0, vcc
	v_xor_b32_e32 v38, v1, v38
	v_cmp_ne_u16_e32 vcc, s2, v38
	v_cndmask_b32_e32 v1, v42, v38, vcc
	v_lshrrev_b32_sdwa v1, s68, v1 dst_sel:DWORD dst_unused:UNUSED_PAD src0_sel:DWORD src1_sel:WORD_0
	v_and_b32_e32 v4, s9, v1
	v_mul_u32_u24_e32 v1, 5, v4
	v_add_lshl_u32 v43, v18, v1, 2
	v_and_b32_e32 v1, 1, v4
	v_add_co_u32_e32 v5, vcc, -1, v1
	v_addc_co_u32_e64 v44, s[0:1], 0, -1, vcc
	v_cmp_ne_u32_e32 vcc, 0, v1
	v_xor_b32_e32 v1, vcc_hi, v44
	v_and_b32_e32 v44, exec_hi, v1
	v_lshlrev_b32_e32 v1, 30, v4
	v_xor_b32_e32 v5, vcc_lo, v5
	v_cmp_gt_i64_e32 vcc, 0, v[0:1]
	v_not_b32_e32 v1, v1
	v_ashrrev_i32_e32 v1, 31, v1
	v_and_b32_e32 v5, exec_lo, v5
	v_xor_b32_e32 v45, vcc_hi, v1
	v_xor_b32_e32 v1, vcc_lo, v1
	v_and_b32_e32 v5, v5, v1
	v_lshlrev_b32_e32 v1, 29, v4
	v_cmp_gt_i64_e32 vcc, 0, v[0:1]
	v_not_b32_e32 v1, v1
	v_ashrrev_i32_e32 v1, 31, v1
	v_and_b32_e32 v44, v44, v45
	v_xor_b32_e32 v45, vcc_hi, v1
	v_xor_b32_e32 v1, vcc_lo, v1
	v_and_b32_e32 v5, v5, v1
	v_lshlrev_b32_e32 v1, 28, v4
	v_cmp_gt_i64_e32 vcc, 0, v[0:1]
	v_not_b32_e32 v1, v1
	v_ashrrev_i32_e32 v1, 31, v1
	v_and_b32_e32 v44, v44, v45
	;; [unrolled: 8-line block ×5, first 2 shown]
	v_xor_b32_e32 v45, vcc_hi, v1
	v_xor_b32_e32 v1, vcc_lo, v1
	v_and_b32_e32 v5, v5, v1
	v_lshlrev_b32_e32 v1, 24, v4
	v_cmp_gt_i64_e32 vcc, 0, v[0:1]
	v_not_b32_e32 v0, v1
	v_ashrrev_i32_e32 v0, 31, v0
	v_xor_b32_e32 v1, vcc_hi, v0
	v_xor_b32_e32 v0, vcc_lo, v0
	; wave barrier
	ds_read_b32 v42, v43 offset:16
	v_and_b32_e32 v44, v44, v45
	v_and_b32_e32 v0, v5, v0
	;; [unrolled: 1-line block ×3, first 2 shown]
	v_mbcnt_lo_u32_b32 v4, v0, 0
	v_mbcnt_hi_u32_b32 v44, v1, v4
	v_cmp_eq_u32_e32 vcc, 0, v44
	v_cmp_ne_u64_e64 s[0:1], 0, v[0:1]
	s_and_b64 s[2:3], s[0:1], vcc
	; wave barrier
	s_and_saveexec_b64 s[0:1], s[2:3]
	s_cbranch_execz .LBB11_146
; %bb.145:
	v_bcnt_u32_b32 v0, v0, 0
	v_bcnt_u32_b32 v0, v1, v0
	s_waitcnt lgkmcnt(0)
	v_add_u32_e32 v0, v42, v0
	ds_write_b32 v43, v0 offset:16
.LBB11_146:
	s_or_b64 exec, exec, s[0:1]
	v_mov_b32_e32 v49, 0x7fff
	s_waitcnt vmcnt(3)
	v_cmp_gt_i16_e32 vcc, 0, v33
	v_cndmask_b32_e64 v1, v49, 0, vcc
	v_xor_b32_e32 v33, v1, v33
	s_movk_i32 s2, 0x8000
	v_cmp_ne_u16_e32 vcc, s2, v33
	v_cndmask_b32_e32 v1, v49, v33, vcc
	v_lshrrev_b32_sdwa v1, s68, v1 dst_sel:DWORD dst_unused:UNUSED_PAD src0_sel:DWORD src1_sel:WORD_0
	v_and_b32_e32 v4, s9, v1
	v_mul_u32_u24_e32 v1, 5, v4
	v_add_lshl_u32 v46, v18, v1, 2
	v_and_b32_e32 v1, 1, v4
	v_add_co_u32_e32 v5, vcc, -1, v1
	v_addc_co_u32_e64 v47, s[0:1], 0, -1, vcc
	v_cmp_ne_u32_e32 vcc, 0, v1
	v_xor_b32_e32 v1, vcc_hi, v47
	v_mov_b32_e32 v0, 0
	v_and_b32_e32 v47, exec_hi, v1
	v_lshlrev_b32_e32 v1, 30, v4
	v_xor_b32_e32 v5, vcc_lo, v5
	v_cmp_gt_i64_e32 vcc, 0, v[0:1]
	v_not_b32_e32 v1, v1
	v_ashrrev_i32_e32 v1, 31, v1
	v_and_b32_e32 v5, exec_lo, v5
	v_xor_b32_e32 v48, vcc_hi, v1
	v_xor_b32_e32 v1, vcc_lo, v1
	v_and_b32_e32 v5, v5, v1
	v_lshlrev_b32_e32 v1, 29, v4
	v_cmp_gt_i64_e32 vcc, 0, v[0:1]
	v_not_b32_e32 v1, v1
	v_ashrrev_i32_e32 v1, 31, v1
	v_and_b32_e32 v47, v47, v48
	v_xor_b32_e32 v48, vcc_hi, v1
	v_xor_b32_e32 v1, vcc_lo, v1
	v_and_b32_e32 v5, v5, v1
	v_lshlrev_b32_e32 v1, 28, v4
	v_cmp_gt_i64_e32 vcc, 0, v[0:1]
	v_not_b32_e32 v1, v1
	v_ashrrev_i32_e32 v1, 31, v1
	v_and_b32_e32 v47, v47, v48
	;; [unrolled: 8-line block ×5, first 2 shown]
	v_xor_b32_e32 v48, vcc_hi, v1
	v_xor_b32_e32 v1, vcc_lo, v1
	v_and_b32_e32 v47, v47, v48
	v_and_b32_e32 v48, v5, v1
	v_lshlrev_b32_e32 v1, 24, v4
	v_cmp_gt_i64_e32 vcc, 0, v[0:1]
	v_not_b32_e32 v1, v1
	v_ashrrev_i32_e32 v1, 31, v1
	v_xor_b32_e32 v4, vcc_hi, v1
	v_xor_b32_e32 v1, vcc_lo, v1
	; wave barrier
	ds_read_b32 v45, v46 offset:16
	v_and_b32_e32 v5, v47, v4
	v_and_b32_e32 v4, v48, v1
	v_mbcnt_lo_u32_b32 v1, v4, 0
	v_mbcnt_hi_u32_b32 v48, v5, v1
	v_cmp_eq_u32_e32 vcc, 0, v48
	v_cmp_ne_u64_e64 s[0:1], 0, v[4:5]
	s_and_b64 s[4:5], s[0:1], vcc
	; wave barrier
	s_and_saveexec_b64 s[0:1], s[4:5]
	s_cbranch_execz .LBB11_148
; %bb.147:
	v_bcnt_u32_b32 v1, v4, 0
	v_bcnt_u32_b32 v1, v5, v1
	s_waitcnt lgkmcnt(0)
	v_add_u32_e32 v1, v45, v1
	ds_write_b32 v46, v1 offset:16
.LBB11_148:
	s_or_b64 exec, exec, s[0:1]
	s_waitcnt vmcnt(2)
	v_cmp_gt_i16_e32 vcc, 0, v28
	v_cndmask_b32_e64 v1, v49, 0, vcc
	v_xor_b32_e32 v47, v1, v28
	v_cmp_ne_u16_e32 vcc, s2, v47
	v_cndmask_b32_e32 v1, v49, v47, vcc
	v_lshrrev_b32_sdwa v1, s68, v1 dst_sel:DWORD dst_unused:UNUSED_PAD src0_sel:DWORD src1_sel:WORD_0
	v_and_b32_e32 v4, s9, v1
	v_mul_u32_u24_e32 v1, 5, v4
	v_add_lshl_u32 v28, v18, v1, 2
	v_and_b32_e32 v1, 1, v4
	v_add_co_u32_e32 v5, vcc, -1, v1
	v_addc_co_u32_e64 v50, s[0:1], 0, -1, vcc
	v_cmp_ne_u32_e32 vcc, 0, v1
	v_xor_b32_e32 v1, vcc_hi, v50
	v_and_b32_e32 v50, exec_hi, v1
	v_lshlrev_b32_e32 v1, 30, v4
	v_xor_b32_e32 v5, vcc_lo, v5
	v_cmp_gt_i64_e32 vcc, 0, v[0:1]
	v_not_b32_e32 v1, v1
	v_ashrrev_i32_e32 v1, 31, v1
	v_and_b32_e32 v5, exec_lo, v5
	v_xor_b32_e32 v51, vcc_hi, v1
	v_xor_b32_e32 v1, vcc_lo, v1
	v_and_b32_e32 v5, v5, v1
	v_lshlrev_b32_e32 v1, 29, v4
	v_cmp_gt_i64_e32 vcc, 0, v[0:1]
	v_not_b32_e32 v1, v1
	v_ashrrev_i32_e32 v1, 31, v1
	v_and_b32_e32 v50, v50, v51
	v_xor_b32_e32 v51, vcc_hi, v1
	v_xor_b32_e32 v1, vcc_lo, v1
	v_and_b32_e32 v5, v5, v1
	v_lshlrev_b32_e32 v1, 28, v4
	v_cmp_gt_i64_e32 vcc, 0, v[0:1]
	v_not_b32_e32 v1, v1
	v_ashrrev_i32_e32 v1, 31, v1
	v_and_b32_e32 v50, v50, v51
	;; [unrolled: 8-line block ×5, first 2 shown]
	v_xor_b32_e32 v51, vcc_hi, v1
	v_xor_b32_e32 v1, vcc_lo, v1
	v_and_b32_e32 v5, v5, v1
	v_lshlrev_b32_e32 v1, 24, v4
	v_cmp_gt_i64_e32 vcc, 0, v[0:1]
	v_not_b32_e32 v0, v1
	v_ashrrev_i32_e32 v0, 31, v0
	v_xor_b32_e32 v1, vcc_hi, v0
	v_xor_b32_e32 v0, vcc_lo, v0
	; wave barrier
	ds_read_b32 v49, v28 offset:16
	v_and_b32_e32 v50, v50, v51
	v_and_b32_e32 v0, v5, v0
	;; [unrolled: 1-line block ×3, first 2 shown]
	v_mbcnt_lo_u32_b32 v4, v0, 0
	v_mbcnt_hi_u32_b32 v51, v1, v4
	v_cmp_eq_u32_e32 vcc, 0, v51
	v_cmp_ne_u64_e64 s[0:1], 0, v[0:1]
	s_and_b64 s[2:3], s[0:1], vcc
	; wave barrier
	s_and_saveexec_b64 s[0:1], s[2:3]
	s_cbranch_execz .LBB11_150
; %bb.149:
	v_bcnt_u32_b32 v0, v0, 0
	v_bcnt_u32_b32 v0, v1, v0
	s_waitcnt lgkmcnt(0)
	v_add_u32_e32 v0, v49, v0
	ds_write_b32 v28, v0 offset:16
.LBB11_150:
	s_or_b64 exec, exec, s[0:1]
	v_mov_b32_e32 v55, 0x7fff
	s_waitcnt vmcnt(1)
	v_cmp_gt_i16_e32 vcc, 0, v23
	v_cndmask_b32_e64 v1, v55, 0, vcc
	v_xor_b32_e32 v50, v1, v23
	s_movk_i32 s2, 0x8000
	v_cmp_ne_u16_e32 vcc, s2, v50
	v_cndmask_b32_e32 v1, v55, v50, vcc
	v_lshrrev_b32_sdwa v1, s68, v1 dst_sel:DWORD dst_unused:UNUSED_PAD src0_sel:DWORD src1_sel:WORD_0
	v_and_b32_e32 v4, s9, v1
	v_mul_u32_u24_e32 v1, 5, v4
	v_add_lshl_u32 v23, v1, v18, 2
	v_and_b32_e32 v1, 1, v4
	v_add_co_u32_e32 v5, vcc, -1, v1
	v_addc_co_u32_e64 v53, s[0:1], 0, -1, vcc
	v_cmp_ne_u32_e32 vcc, 0, v1
	v_xor_b32_e32 v1, vcc_hi, v53
	v_mov_b32_e32 v0, 0
	v_and_b32_e32 v53, exec_hi, v1
	v_lshlrev_b32_e32 v1, 30, v4
	v_xor_b32_e32 v5, vcc_lo, v5
	v_cmp_gt_i64_e32 vcc, 0, v[0:1]
	v_not_b32_e32 v1, v1
	v_ashrrev_i32_e32 v1, 31, v1
	v_and_b32_e32 v5, exec_lo, v5
	v_xor_b32_e32 v54, vcc_hi, v1
	v_xor_b32_e32 v1, vcc_lo, v1
	v_and_b32_e32 v5, v5, v1
	v_lshlrev_b32_e32 v1, 29, v4
	v_cmp_gt_i64_e32 vcc, 0, v[0:1]
	v_not_b32_e32 v1, v1
	v_ashrrev_i32_e32 v1, 31, v1
	v_and_b32_e32 v53, v53, v54
	v_xor_b32_e32 v54, vcc_hi, v1
	v_xor_b32_e32 v1, vcc_lo, v1
	v_and_b32_e32 v5, v5, v1
	v_lshlrev_b32_e32 v1, 28, v4
	v_cmp_gt_i64_e32 vcc, 0, v[0:1]
	v_not_b32_e32 v1, v1
	v_ashrrev_i32_e32 v1, 31, v1
	v_and_b32_e32 v53, v53, v54
	;; [unrolled: 8-line block ×5, first 2 shown]
	v_xor_b32_e32 v54, vcc_hi, v1
	v_xor_b32_e32 v1, vcc_lo, v1
	v_and_b32_e32 v53, v53, v54
	v_and_b32_e32 v54, v5, v1
	v_lshlrev_b32_e32 v1, 24, v4
	v_cmp_gt_i64_e32 vcc, 0, v[0:1]
	v_not_b32_e32 v1, v1
	v_ashrrev_i32_e32 v1, 31, v1
	v_xor_b32_e32 v4, vcc_hi, v1
	v_xor_b32_e32 v1, vcc_lo, v1
	; wave barrier
	ds_read_b32 v52, v23 offset:16
	v_and_b32_e32 v5, v53, v4
	v_and_b32_e32 v4, v54, v1
	v_mbcnt_lo_u32_b32 v1, v4, 0
	v_mbcnt_hi_u32_b32 v54, v5, v1
	v_cmp_eq_u32_e32 vcc, 0, v54
	v_cmp_ne_u64_e64 s[0:1], 0, v[4:5]
	s_and_b64 s[4:5], s[0:1], vcc
	; wave barrier
	s_and_saveexec_b64 s[0:1], s[4:5]
	s_cbranch_execz .LBB11_152
; %bb.151:
	v_bcnt_u32_b32 v1, v4, 0
	v_bcnt_u32_b32 v1, v5, v1
	s_waitcnt lgkmcnt(0)
	v_add_u32_e32 v1, v52, v1
	ds_write_b32 v23, v1 offset:16
.LBB11_152:
	s_or_b64 exec, exec, s[0:1]
	s_waitcnt vmcnt(0)
	v_cmp_gt_i16_e32 vcc, 0, v17
	v_cndmask_b32_e64 v1, v55, 0, vcc
	v_xor_b32_e32 v53, v1, v17
	v_cmp_ne_u16_e32 vcc, s2, v53
	v_cndmask_b32_e32 v1, v55, v53, vcc
	v_lshrrev_b32_sdwa v1, s68, v1 dst_sel:DWORD dst_unused:UNUSED_PAD src0_sel:DWORD src1_sel:WORD_0
	v_and_b32_e32 v4, s9, v1
	v_mul_u32_u24_e32 v1, 5, v4
	v_add_lshl_u32 v17, v1, v18, 2
	v_and_b32_e32 v1, 1, v4
	v_add_co_u32_e32 v5, vcc, -1, v1
	v_addc_co_u32_e64 v18, s[0:1], 0, -1, vcc
	v_cmp_ne_u32_e32 vcc, 0, v1
	v_xor_b32_e32 v1, vcc_hi, v18
	v_and_b32_e32 v18, exec_hi, v1
	v_lshlrev_b32_e32 v1, 30, v4
	v_xor_b32_e32 v5, vcc_lo, v5
	v_cmp_gt_i64_e32 vcc, 0, v[0:1]
	v_not_b32_e32 v1, v1
	v_ashrrev_i32_e32 v1, 31, v1
	v_and_b32_e32 v5, exec_lo, v5
	v_xor_b32_e32 v57, vcc_hi, v1
	v_xor_b32_e32 v1, vcc_lo, v1
	v_and_b32_e32 v5, v5, v1
	v_lshlrev_b32_e32 v1, 29, v4
	v_cmp_gt_i64_e32 vcc, 0, v[0:1]
	v_not_b32_e32 v1, v1
	v_ashrrev_i32_e32 v1, 31, v1
	v_and_b32_e32 v18, v18, v57
	v_xor_b32_e32 v57, vcc_hi, v1
	v_xor_b32_e32 v1, vcc_lo, v1
	v_and_b32_e32 v5, v5, v1
	v_lshlrev_b32_e32 v1, 28, v4
	v_cmp_gt_i64_e32 vcc, 0, v[0:1]
	v_not_b32_e32 v1, v1
	v_ashrrev_i32_e32 v1, 31, v1
	v_and_b32_e32 v18, v18, v57
	;; [unrolled: 8-line block ×5, first 2 shown]
	v_xor_b32_e32 v57, vcc_hi, v1
	v_xor_b32_e32 v1, vcc_lo, v1
	v_and_b32_e32 v5, v5, v1
	v_lshlrev_b32_e32 v1, 24, v4
	v_cmp_gt_i64_e32 vcc, 0, v[0:1]
	v_not_b32_e32 v0, v1
	v_ashrrev_i32_e32 v0, 31, v0
	v_xor_b32_e32 v1, vcc_hi, v0
	v_xor_b32_e32 v0, vcc_lo, v0
	; wave barrier
	ds_read_b32 v55, v17 offset:16
	v_and_b32_e32 v18, v18, v57
	v_and_b32_e32 v0, v5, v0
	;; [unrolled: 1-line block ×3, first 2 shown]
	v_mbcnt_lo_u32_b32 v4, v0, 0
	v_mbcnt_hi_u32_b32 v57, v1, v4
	v_cmp_eq_u32_e32 vcc, 0, v57
	v_cmp_ne_u64_e64 s[0:1], 0, v[0:1]
	v_add_u32_e32 v56, 16, v6
	s_and_b64 s[2:3], s[0:1], vcc
	; wave barrier
	s_and_saveexec_b64 s[0:1], s[2:3]
	s_cbranch_execz .LBB11_154
; %bb.153:
	v_bcnt_u32_b32 v0, v0, 0
	v_bcnt_u32_b32 v0, v1, v0
	s_waitcnt lgkmcnt(0)
	v_add_u32_e32 v0, v55, v0
	ds_write_b32 v17, v0 offset:16
.LBB11_154:
	s_or_b64 exec, exec, s[0:1]
	; wave barrier
	s_waitcnt lgkmcnt(0)
	s_barrier
	ds_read2_b32 v[4:5], v6 offset0:4 offset1:5
	ds_read2_b32 v[0:1], v56 offset0:2 offset1:3
	ds_read_b32 v18, v56 offset:16
	v_min_u32_e32 v7, 0xc0, v7
	v_or_b32_e32 v7, 63, v7
	s_waitcnt lgkmcnt(1)
	v_add3_u32 v58, v5, v4, v0
	s_waitcnt lgkmcnt(0)
	v_add3_u32 v18, v58, v1, v18
	v_and_b32_e32 v58, 15, v11
	v_cmp_ne_u32_e32 vcc, 0, v58
	v_mov_b32_dpp v59, v18 row_shr:1 row_mask:0xf bank_mask:0xf
	v_cndmask_b32_e32 v59, 0, v59, vcc
	v_add_u32_e32 v18, v59, v18
	v_cmp_lt_u32_e32 vcc, 1, v58
	s_nop 0
	v_mov_b32_dpp v59, v18 row_shr:2 row_mask:0xf bank_mask:0xf
	v_cndmask_b32_e32 v59, 0, v59, vcc
	v_add_u32_e32 v18, v18, v59
	v_cmp_lt_u32_e32 vcc, 3, v58
	s_nop 0
	;; [unrolled: 5-line block ×3, first 2 shown]
	v_mov_b32_dpp v59, v18 row_shr:8 row_mask:0xf bank_mask:0xf
	v_cndmask_b32_e32 v58, 0, v59, vcc
	v_add_u32_e32 v18, v18, v58
	v_bfe_i32 v59, v11, 4, 1
	v_cmp_lt_u32_e32 vcc, 31, v11
	v_mov_b32_dpp v58, v18 row_bcast:15 row_mask:0xf bank_mask:0xf
	v_and_b32_e32 v58, v59, v58
	v_add_u32_e32 v18, v18, v58
	s_nop 1
	v_mov_b32_dpp v58, v18 row_bcast:31 row_mask:0xf bank_mask:0xf
	v_cndmask_b32_e32 v58, 0, v58, vcc
	v_add_u32_e32 v18, v18, v58
	v_lshrrev_b32_e32 v58, 6, v2
	v_cmp_eq_u32_e32 vcc, v7, v2
	s_and_saveexec_b64 s[0:1], vcc
	s_cbranch_execz .LBB11_156
; %bb.155:
	v_lshlrev_b32_e32 v7, 2, v58
	ds_write_b32 v7, v18
.LBB11_156:
	s_or_b64 exec, exec, s[0:1]
	v_cmp_gt_u32_e32 vcc, 4, v2
	s_waitcnt lgkmcnt(0)
	s_barrier
	s_and_saveexec_b64 s[0:1], vcc
	s_cbranch_execz .LBB11_158
; %bb.157:
	v_lshlrev_b32_e32 v7, 2, v2
	ds_read_b32 v59, v7
	v_and_b32_e32 v60, 3, v11
	v_cmp_ne_u32_e32 vcc, 0, v60
	s_waitcnt lgkmcnt(0)
	v_mov_b32_dpp v61, v59 row_shr:1 row_mask:0xf bank_mask:0xf
	v_cndmask_b32_e32 v61, 0, v61, vcc
	v_add_u32_e32 v59, v61, v59
	v_cmp_lt_u32_e32 vcc, 1, v60
	s_nop 0
	v_mov_b32_dpp v61, v59 row_shr:2 row_mask:0xf bank_mask:0xf
	v_cndmask_b32_e32 v60, 0, v61, vcc
	v_add_u32_e32 v59, v59, v60
	ds_write_b32 v7, v59
.LBB11_158:
	s_or_b64 exec, exec, s[0:1]
	v_cmp_lt_u32_e32 vcc, 63, v2
	v_mov_b32_e32 v7, 0
	s_waitcnt lgkmcnt(0)
	s_barrier
	s_and_saveexec_b64 s[0:1], vcc
	s_cbranch_execz .LBB11_160
; %bb.159:
	v_lshl_add_u32 v7, v58, 2, -4
	ds_read_b32 v7, v7
.LBB11_160:
	s_or_b64 exec, exec, s[0:1]
	v_add_u32_e32 v58, -1, v11
	v_and_b32_e32 v59, 64, v11
	v_cmp_lt_i32_e32 vcc, v58, v59
	v_cndmask_b32_e32 v58, v58, v11, vcc
	s_waitcnt lgkmcnt(0)
	v_add_u32_e32 v18, v7, v18
	v_lshlrev_b32_e32 v58, 2, v58
	ds_bpermute_b32 v18, v58, v18
	v_cmp_eq_u32_e32 vcc, 0, v11
	s_movk_i32 s0, 0x100
	s_waitcnt lgkmcnt(0)
	v_cndmask_b32_e32 v7, v18, v7, vcc
	v_cmp_ne_u32_e32 vcc, 0, v2
	v_cndmask_b32_e32 v7, 0, v7, vcc
	v_add_u32_e32 v4, v7, v4
	v_add_u32_e32 v5, v4, v5
	;; [unrolled: 1-line block ×4, first 2 shown]
	ds_write2_b32 v6, v7, v4 offset0:4 offset1:5
	ds_write2_b32 v56, v5, v0 offset0:2 offset1:3
	ds_write_b32 v56, v1 offset:16
	s_waitcnt lgkmcnt(0)
	s_barrier
	ds_read_b32 v1, v14 offset:16
	ds_read_b32 v5, v20 offset:16
	;; [unrolled: 1-line block ×13, first 2 shown]
	v_add_u32_e32 v6, 1, v2
	v_cmp_ne_u32_e32 vcc, s0, v6
	v_mov_b32_e32 v0, 0xc00
	s_and_saveexec_b64 s[0:1], vcc
	s_cbranch_execz .LBB11_162
; %bb.161:
	v_mul_u32_u24_e32 v0, 5, v6
	v_lshlrev_b32_e32 v0, 2, v0
	ds_read_b32 v0, v0 offset:16
.LBB11_162:
	s_or_b64 exec, exec, s[0:1]
	s_waitcnt lgkmcnt(1)
	v_add_u32_e32 v30, v8, v9
	v_add3_u32 v28, v15, v13, v1
	v_lshlrev_b32_e32 v1, 1, v30
	v_add3_u32 v25, v22, v19, v5
	s_waitcnt lgkmcnt(0)
	s_barrier
	ds_write_b16 v1, v3 offset:2048
	v_lshlrev_b32_e32 v1, 1, v28
	v_add3_u32 v23, v26, v24, v7
	ds_write_b16 v1, v12 offset:2048
	v_lshlrev_b32_e32 v1, 1, v25
	v_add3_u32 v22, v32, v29, v14
	;; [unrolled: 3-line block ×9, first 2 shown]
	ds_write_b16 v1, v47 offset:2048
	v_lshlrev_b32_e32 v1, 1, v14
	ds_write_b16 v1, v50 offset:2048
	v_lshlrev_b32_e32 v1, 1, v13
	ds_write_b16 v1, v53 offset:2048
	v_sub_u32_e32 v32, v0, v4
	v_lshl_add_u32 v0, s6, 8, v2
	v_mov_b32_e32 v1, 0
	v_lshlrev_b64 v[6:7], 2, v[0:1]
	v_mov_b32_e32 v3, s73
	v_add_co_u32_e32 v6, vcc, s72, v6
	v_addc_co_u32_e32 v7, vcc, v3, v7, vcc
	v_or_b32_e32 v0, 2.0, v32
	s_mov_b64 s[0:1], 0
	s_brev_b32 s10, 1
	v_mov_b32_e32 v5, 0
	s_waitcnt lgkmcnt(0)
	s_barrier
	global_store_dword v[6:7], v0, off
                                        ; implicit-def: $sgpr2_sgpr3
	s_branch .LBB11_165
.LBB11_163:                             ;   in Loop: Header=BB11_165 Depth=1
	s_or_b64 exec, exec, s[4:5]
.LBB11_164:                             ;   in Loop: Header=BB11_165 Depth=1
	s_or_b64 exec, exec, s[2:3]
	v_and_b32_e32 v8, 0x3fffffff, v12
	v_add_u32_e32 v5, v8, v5
	v_cmp_eq_u32_e64 s[2:3], s10, v0
	s_and_b64 s[4:5], exec, s[2:3]
	s_or_b64 s[0:1], s[4:5], s[0:1]
	s_andn2_b64 exec, exec, s[0:1]
	s_cbranch_execz .LBB11_170
.LBB11_165:                             ; =>This Loop Header: Depth=1
                                        ;     Child Loop BB11_168 Depth 2
	s_or_b64 s[2:3], s[2:3], exec
	s_cmp_eq_u32 s7, 0
	s_cbranch_scc1 .LBB11_169
; %bb.166:                              ;   in Loop: Header=BB11_165 Depth=1
	s_add_i32 s7, s7, -1
	v_lshl_add_u32 v0, s7, 8, v2
	v_lshlrev_b64 v[8:9], 2, v[0:1]
	v_add_co_u32_e32 v8, vcc, s72, v8
	v_addc_co_u32_e32 v9, vcc, v3, v9, vcc
	global_load_dword v12, v[8:9], off glc
	s_waitcnt vmcnt(0)
	v_and_b32_e32 v0, -2.0, v12
	v_cmp_eq_u32_e32 vcc, 0, v0
	s_and_saveexec_b64 s[2:3], vcc
	s_cbranch_execz .LBB11_164
; %bb.167:                              ;   in Loop: Header=BB11_165 Depth=1
	s_mov_b64 s[4:5], 0
.LBB11_168:                             ;   Parent Loop BB11_165 Depth=1
                                        ; =>  This Inner Loop Header: Depth=2
	global_load_dword v12, v[8:9], off glc
	s_waitcnt vmcnt(0)
	v_and_b32_e32 v0, -2.0, v12
	v_cmp_ne_u32_e32 vcc, 0, v0
	s_or_b64 s[4:5], vcc, s[4:5]
	s_andn2_b64 exec, exec, s[4:5]
	s_cbranch_execnz .LBB11_168
	s_branch .LBB11_163
.LBB11_169:                             ;   in Loop: Header=BB11_165 Depth=1
                                        ; implicit-def: $sgpr7
	s_and_b64 s[4:5], exec, s[2:3]
	s_or_b64 s[0:1], s[4:5], s[0:1]
	s_andn2_b64 exec, exec, s[0:1]
	s_cbranch_execnz .LBB11_165
.LBB11_170:
	s_or_b64 exec, exec, s[0:1]
	v_add_u32_e32 v0, v5, v32
	v_or_b32_e32 v0, 0x80000000, v0
	global_store_dword v[6:7], v0, off
	v_lshlrev_b32_e32 v33, 3, v2
	global_load_dwordx2 v[0:1], v33, s[64:65]
	v_sub_co_u32_e32 v6, vcc, v5, v4
	v_subb_co_u32_e64 v7, s[0:1], 0, 0, vcc
	s_movk_i32 s0, 0x8000
	v_mad_i32_i24 v9, v2, -6, v33
	v_mov_b32_e32 v12, 0x7fff
	v_lshlrev_b32_e32 v16, 1, v2
	v_mov_b32_e32 v8, s59
	v_mov_b32_e32 v21, s59
	;; [unrolled: 1-line block ×3, first 2 shown]
	s_lshl_b64 s[2:3], s[54:55], 3
	s_add_u32 s1, s60, s2
	s_addc_u32 s2, s61, s3
	v_mov_b32_e32 v66, s59
	s_add_i32 s8, s8, -1
	v_mov_b32_e32 v3, 0
	s_cmp_eq_u32 s6, s8
	v_mov_b32_e32 v5, v3
	s_waitcnt vmcnt(0)
	v_add_co_u32_e32 v0, vcc, v6, v0
	v_addc_co_u32_e32 v1, vcc, v7, v1, vcc
	ds_write_b64 v33, v[0:1]
	s_waitcnt lgkmcnt(0)
	s_barrier
	ds_read_u16 v0, v9 offset:2048
	ds_read_u16 v1, v16 offset:2560
	;; [unrolled: 1-line block ×7, first 2 shown]
	s_waitcnt lgkmcnt(6)
	v_cmp_ne_u16_e32 vcc, s0, v0
	v_cndmask_b32_e32 v7, v12, v0, vcc
	v_cmp_gt_i16_e32 vcc, 0, v0
	v_cndmask_b32_e64 v9, v12, 0, vcc
	s_waitcnt lgkmcnt(5)
	v_cmp_ne_u16_e32 vcc, s0, v1
	v_cndmask_b32_e32 v26, v12, v1, vcc
	v_cmp_gt_i16_e32 vcc, 0, v1
	v_cndmask_b32_e64 v27, v12, 0, vcc
	;; [unrolled: 5-line block ×3, first 2 shown]
	v_lshrrev_b32_sdwa v7, s68, v7 dst_sel:DWORD dst_unused:UNUSED_PAD src0_sel:DWORD src1_sel:WORD_0
	v_xor_b32_e32 v9, v9, v0
	v_lshrrev_b32_sdwa v0, s68, v26 dst_sel:DWORD dst_unused:UNUSED_PAD src0_sel:DWORD src1_sel:WORD_0
	v_xor_b32_e32 v37, v27, v1
	;; [unrolled: 2-line block ×3, first 2 shown]
	v_and_b32_e32 v6, s9, v7
	v_and_b32_e32 v0, s9, v0
	v_and_b32_e32 v1, s9, v1
	v_lshlrev_b32_e32 v55, 3, v6
	v_lshlrev_b32_e32 v56, 3, v0
	;; [unrolled: 1-line block ×3, first 2 shown]
	ds_read_b64 v[0:1], v55
	ds_read_u16 v6, v16 offset:3072
	ds_read_u16 v36, v16 offset:4096
	;; [unrolled: 1-line block ×5, first 2 shown]
	s_waitcnt lgkmcnt(4)
	v_cmp_ne_u16_e32 vcc, s0, v6
	v_cndmask_b32_e32 v7, v12, v6, vcc
	v_cmp_gt_i16_e32 vcc, 0, v6
	v_lshlrev_b64 v[0:1], 1, v[0:1]
	v_cndmask_b32_e64 v26, v12, 0, vcc
	s_waitcnt lgkmcnt(3)
	v_cmp_ne_u16_e32 vcc, s0, v36
	v_cndmask_b32_e32 v27, v12, v36, vcc
	v_add_co_u32_e32 v0, vcc, s58, v0
	v_addc_co_u32_e32 v1, vcc, v8, v1, vcc
	v_add_co_u32_e32 v0, vcc, v0, v16
	v_addc_co_u32_e32 v1, vcc, 0, v1, vcc
	global_store_short v[0:1], v9, off
	ds_read_b64 v[0:1], v56
	v_lshrrev_b32_sdwa v7, s68, v7 dst_sel:DWORD dst_unused:UNUSED_PAD src0_sel:DWORD src1_sel:WORD_0
	v_xor_b32_e32 v40, v26, v6
	v_lshrrev_b32_sdwa v6, s68, v27 dst_sel:DWORD dst_unused:UNUSED_PAD src0_sel:DWORD src1_sel:WORD_0
	v_and_b32_e32 v7, s9, v7
	s_waitcnt lgkmcnt(0)
	v_lshlrev_b64 v[0:1], 1, v[0:1]
	v_and_b32_e32 v6, s9, v6
	v_lshlrev_b32_e32 v59, 3, v7
	v_add_co_u32_e32 v0, vcc, s58, v0
	v_lshlrev_b32_e32 v60, 3, v6
	ds_read_b64 v[6:7], v59
	ds_read_b64 v[8:9], v57
	;; [unrolled: 1-line block ×3, first 2 shown]
	v_addc_co_u32_e32 v1, vcc, v21, v1, vcc
	v_add_co_u32_e32 v0, vcc, v0, v16
	v_addc_co_u32_e32 v1, vcc, 0, v1, vcc
	global_store_short v[0:1], v37, off offset:512
	s_waitcnt lgkmcnt(2)
	v_lshlrev_b64 v[0:1], 1, v[6:7]
	v_add_co_u32_e32 v0, vcc, s58, v0
	v_addc_co_u32_e32 v1, vcc, v24, v1, vcc
	v_add_co_u32_e32 v0, vcc, v0, v16
	s_waitcnt lgkmcnt(1)
	v_lshlrev_b64 v[6:7], 1, v[8:9]
	v_addc_co_u32_e32 v1, vcc, 0, v1, vcc
	global_store_short v[0:1], v40, off offset:1024
	v_mov_b32_e32 v0, s59
	v_add_co_u32_e32 v1, vcc, s58, v6
	v_addc_co_u32_e32 v6, vcc, v0, v7, vcc
	v_add_co_u32_e32 v0, vcc, v1, v16
	v_addc_co_u32_e32 v1, vcc, 0, v6, vcc
	v_cmp_gt_i16_e32 vcc, 0, v36
	global_store_short v[0:1], v35, off offset:1536
	v_cndmask_b32_e64 v0, v12, 0, vcc
	v_xor_b32_e32 v6, v0, v36
	s_waitcnt lgkmcnt(0)
	v_lshlrev_b64 v[0:1], 1, v[26:27]
	v_mov_b32_e32 v7, s59
	v_add_co_u32_e32 v0, vcc, s58, v0
	v_addc_co_u32_e32 v1, vcc, v7, v1, vcc
	v_add_co_u32_e32 v0, vcc, v0, v16
	v_addc_co_u32_e32 v1, vcc, 0, v1, vcc
	v_cmp_ne_u16_e32 vcc, s0, v29
	global_store_short v[0:1], v6, off offset:2048
	v_cndmask_b32_e32 v0, v12, v29, vcc
	v_lshrrev_b32_sdwa v0, s68, v0 dst_sel:DWORD dst_unused:UNUSED_PAD src0_sel:DWORD src1_sel:WORD_0
	v_cmp_gt_i16_e32 vcc, 0, v29
	v_and_b32_e32 v0, s9, v0
	v_cndmask_b32_e64 v1, v12, 0, vcc
	v_cmp_ne_u16_e32 vcc, s0, v38
	v_lshlrev_b32_e32 v24, 3, v0
	v_cndmask_b32_e32 v0, v12, v38, vcc
	v_lshrrev_b32_sdwa v0, s68, v0 dst_sel:DWORD dst_unused:UNUSED_PAD src0_sel:DWORD src1_sel:WORD_0
	v_and_b32_e32 v0, s9, v0
	v_cmp_ne_u16_e32 vcc, s0, v31
	v_xor_b32_e32 v21, v1, v29
	v_lshlrev_b32_e32 v29, 3, v0
	v_cndmask_b32_e32 v0, v12, v31, vcc
	v_lshrrev_b32_sdwa v0, s68, v0 dst_sel:DWORD dst_unused:UNUSED_PAD src0_sel:DWORD src1_sel:WORD_0
	v_and_b32_e32 v0, s9, v0
	v_cmp_ne_u16_e32 vcc, s0, v39
	v_lshlrev_b32_e32 v61, 3, v0
	v_cndmask_b32_e32 v0, v12, v39, vcc
	v_lshrrev_b32_sdwa v0, s68, v0 dst_sel:DWORD dst_unused:UNUSED_PAD src0_sel:DWORD src1_sel:WORD_0
	v_and_b32_e32 v6, s9, v0
	ds_read_b64 v[0:1], v24
	v_mov_b32_e32 v35, s59
	v_lshlrev_b32_e32 v62, 3, v6
	ds_read_b64 v[6:7], v29
	ds_read_b64 v[8:9], v61
	;; [unrolled: 1-line block ×3, first 2 shown]
	s_waitcnt lgkmcnt(3)
	v_lshlrev_b64 v[0:1], 1, v[0:1]
	v_add_co_u32_e32 v0, vcc, s58, v0
	v_addc_co_u32_e32 v1, vcc, v35, v1, vcc
	v_add_co_u32_e32 v0, vcc, v0, v16
	v_addc_co_u32_e32 v1, vcc, 0, v1, vcc
	v_cmp_gt_i16_e32 vcc, 0, v38
	global_store_short v[0:1], v21, off offset:2560
	v_cndmask_b32_e64 v0, v12, 0, vcc
	v_xor_b32_e32 v21, v0, v38
	s_waitcnt lgkmcnt(2)
	v_lshlrev_b64 v[0:1], 1, v[6:7]
	v_mov_b32_e32 v6, s59
	v_add_co_u32_e32 v0, vcc, s58, v0
	v_addc_co_u32_e32 v1, vcc, v6, v1, vcc
	v_add_co_u32_e32 v0, vcc, v0, v16
	v_addc_co_u32_e32 v1, vcc, 0, v1, vcc
	v_cmp_gt_i16_e32 vcc, 0, v31
	global_store_short v[0:1], v21, off offset:3072
	v_cndmask_b32_e64 v0, v12, 0, vcc
	v_xor_b32_e32 v6, v0, v31
	s_waitcnt lgkmcnt(1)
	v_lshlrev_b64 v[0:1], 1, v[8:9]
	v_mov_b32_e32 v7, s59
	v_add_co_u32_e32 v0, vcc, s58, v0
	v_addc_co_u32_e32 v1, vcc, v7, v1, vcc
	v_add_co_u32_e32 v0, vcc, v0, v16
	v_addc_co_u32_e32 v1, vcc, 0, v1, vcc
	v_cmp_gt_i16_e32 vcc, 0, v39
	global_store_short v[0:1], v6, off offset:3584
	v_cndmask_b32_e64 v0, v12, 0, vcc
	v_xor_b32_e32 v6, v0, v39
	s_waitcnt lgkmcnt(0)
	v_lshlrev_b64 v[0:1], 1, v[26:27]
	v_or_b32_e32 v16, 0x800, v2
	v_add_co_u32_e32 v0, vcc, s58, v0
	v_addc_co_u32_e32 v1, vcc, v7, v1, vcc
	v_lshlrev_b32_e32 v7, 1, v16
	v_add_co_u32_e32 v0, vcc, v0, v7
	v_addc_co_u32_e32 v1, vcc, 0, v1, vcc
	v_cmp_ne_u16_e32 vcc, s0, v34
	global_store_short v[0:1], v6, off
	v_cndmask_b32_e32 v0, v12, v34, vcc
	v_lshrrev_b32_sdwa v0, s68, v0 dst_sel:DWORD dst_unused:UNUSED_PAD src0_sel:DWORD src1_sel:WORD_0
	v_and_b32_e32 v26, s9, v0
	v_cmp_gt_i16_e32 vcc, 0, v34
	v_lshlrev_b32_e32 v0, 3, v11
	v_cndmask_b32_e64 v8, v12, 0, vcc
	v_mov_b32_e32 v1, s2
	v_add_co_u32_e32 v0, vcc, s1, v0
	v_addc_co_u32_e32 v1, vcc, 0, v1, vcc
	v_lshlrev_b32_e32 v6, 3, v10
	v_add_co_u32_e32 v0, vcc, v0, v6
	v_addc_co_u32_e32 v1, vcc, 0, v1, vcc
	global_load_dwordx2 v[6:7], v[0:1], off
	v_xor_b32_e32 v31, v8, v34
	global_load_dwordx2 v[8:9], v[0:1], off offset:512
	s_movk_i32 s1, 0x1000
	v_lshlrev_b32_e32 v63, 3, v26
	global_load_dwordx2 v[10:11], v[0:1], off offset:1024
	global_load_dwordx2 v[26:27], v[0:1], off offset:1536
	;; [unrolled: 1-line block ×6, first 2 shown]
	v_add_co_u32_e32 v0, vcc, s1, v0
	v_addc_co_u32_e32 v1, vcc, 0, v1, vcc
	global_load_dwordx2 v[42:43], v[0:1], off
	global_load_dwordx2 v[44:45], v[0:1], off offset:512
	v_cmp_ne_u16_e32 vcc, s0, v58
	v_cndmask_b32_e32 v46, v12, v58, vcc
	v_lshrrev_b32_sdwa v48, s68, v46 dst_sel:DWORD dst_unused:UNUSED_PAD src0_sel:DWORD src1_sel:WORD_0
	global_load_dwordx2 v[46:47], v[0:1], off offset:1024
	v_and_b32_e32 v48, s9, v48
	global_load_dwordx2 v[0:1], v[0:1], off offset:1536
	v_cmp_ne_u16_e32 vcc, s0, v54
	v_lshlrev_b32_e32 v64, 3, v48
	v_cndmask_b32_e32 v48, v12, v54, vcc
	v_lshrrev_b32_sdwa v50, s68, v48 dst_sel:DWORD dst_unused:UNUSED_PAD src0_sel:DWORD src1_sel:WORD_0
	ds_read_b64 v[48:49], v63
	v_add_u32_e32 v21, 0x900, v2
	v_and_b32_e32 v50, s9, v50
	v_lshlrev_b32_e32 v65, 3, v50
	ds_read_b64 v[50:51], v64
	ds_read_b64 v[52:53], v65
	s_waitcnt lgkmcnt(2)
	v_lshlrev_b64 v[48:49], 1, v[48:49]
	v_add_co_u32_e32 v48, vcc, s58, v48
	v_addc_co_u32_e32 v49, vcc, v66, v49, vcc
	v_lshlrev_b32_e32 v66, 1, v21
	v_add_co_u32_e32 v48, vcc, v48, v66
	v_addc_co_u32_e32 v49, vcc, 0, v49, vcc
	v_cmp_gt_i16_e32 vcc, 0, v58
	global_store_short v[48:49], v31, off
	v_cndmask_b32_e64 v48, v12, 0, vcc
	v_xor_b32_e32 v58, v48, v58
	s_waitcnt lgkmcnt(1)
	v_lshlrev_b64 v[48:49], 1, v[50:51]
	v_add_u32_e32 v31, 0xa00, v2
	v_mov_b32_e32 v50, s59
	v_add_co_u32_e32 v48, vcc, s58, v48
	v_addc_co_u32_e32 v49, vcc, v50, v49, vcc
	v_lshlrev_b32_e32 v50, 1, v31
	v_add_co_u32_e32 v48, vcc, v48, v50
	v_addc_co_u32_e32 v49, vcc, 0, v49, vcc
	global_store_short v[48:49], v58, off
	v_cmp_gt_i16_e32 vcc, 0, v54
	s_waitcnt lgkmcnt(0)
	v_lshlrev_b64 v[48:49], 1, v[52:53]
	v_add_u32_e32 v50, 0xb00, v2
	v_cndmask_b32_e64 v12, v12, 0, vcc
	v_mov_b32_e32 v51, s59
	v_add_co_u32_e32 v48, vcc, s58, v48
	v_addc_co_u32_e32 v49, vcc, v51, v49, vcc
	v_lshlrev_b32_e32 v51, 1, v50
	v_add_co_u32_e32 v48, vcc, v48, v51
	v_xor_b32_e32 v12, v12, v54
	v_addc_co_u32_e32 v49, vcc, 0, v49, vcc
	global_store_short v[48:49], v12, off
	v_lshlrev_b32_e32 v12, 3, v30
	s_barrier
	v_lshlrev_b32_e32 v16, 3, v16
	s_cselect_b64 s[0:1], -1, 0
	s_waitcnt vmcnt(14)
	ds_write_b64 v12, v[6:7] offset:2048
	v_lshlrev_b32_e32 v6, 3, v28
	s_waitcnt vmcnt(13)
	ds_write_b64 v6, v[8:9] offset:2048
	v_lshlrev_b32_e32 v6, 3, v25
	;; [unrolled: 3-line block ×11, first 2 shown]
	s_waitcnt vmcnt(3)
	ds_write_b64 v6, v[0:1] offset:2048
	s_waitcnt lgkmcnt(0)
	s_barrier
	ds_read_b64 v[0:1], v55
	ds_read2st64_b64 v[6:9], v33 offset0:4 offset1:8
	ds_read_b64 v[10:11], v56
	ds_read_b64 v[12:13], v59
	ds_read_b64 v[14:15], v57
	s_waitcnt lgkmcnt(4)
	v_lshlrev_b64 v[0:1], 3, v[0:1]
	v_mov_b32_e32 v17, s63
	v_add_co_u32_e32 v0, vcc, s62, v0
	v_addc_co_u32_e32 v1, vcc, v17, v1, vcc
	v_add_co_u32_e32 v0, vcc, v0, v33
	v_addc_co_u32_e32 v1, vcc, 0, v1, vcc
	s_waitcnt lgkmcnt(3)
	global_store_dwordx2 v[0:1], v[6:7], off
	s_waitcnt lgkmcnt(2)
	v_lshlrev_b64 v[0:1], 3, v[10:11]
	v_mov_b32_e32 v6, s63
	v_add_co_u32_e32 v0, vcc, s62, v0
	v_addc_co_u32_e32 v1, vcc, v6, v1, vcc
	v_add_co_u32_e32 v0, vcc, v0, v33
	v_addc_co_u32_e32 v1, vcc, 0, v1, vcc
	global_store_dwordx2 v[0:1], v[8:9], off offset:2048
	ds_read2st64_b64 v[6:9], v33 offset0:12 offset1:16
	s_waitcnt lgkmcnt(2)
	v_lshlrev_b64 v[0:1], 3, v[12:13]
	v_mov_b32_e32 v10, s63
	v_add_co_u32_e32 v0, vcc, s62, v0
	v_addc_co_u32_e32 v1, vcc, v10, v1, vcc
	v_add_u32_e32 v10, 0x1000, v33
	v_add_co_u32_e32 v0, vcc, v0, v10
	v_addc_co_u32_e32 v1, vcc, 0, v1, vcc
	s_waitcnt lgkmcnt(0)
	global_store_dwordx2 v[0:1], v[6:7], off
	v_lshlrev_b64 v[0:1], 3, v[14:15]
	v_mov_b32_e32 v6, s63
	v_add_co_u32_e32 v0, vcc, s62, v0
	v_addc_co_u32_e32 v1, vcc, v6, v1, vcc
	v_add_u32_e32 v6, 0x1800, v33
	v_add_co_u32_e32 v0, vcc, v0, v6
	v_addc_co_u32_e32 v1, vcc, 0, v1, vcc
	global_store_dwordx2 v[0:1], v[8:9], off
	ds_read_b64 v[0:1], v60
	ds_read2st64_b64 v[6:9], v33 offset0:20 offset1:24
	ds_read_b64 v[10:11], v24
	ds_read_b64 v[12:13], v29
	;; [unrolled: 1-line block ×3, first 2 shown]
	s_waitcnt lgkmcnt(4)
	v_lshlrev_b64 v[0:1], 3, v[0:1]
	v_add_co_u32_e32 v0, vcc, s62, v0
	v_addc_co_u32_e32 v1, vcc, v17, v1, vcc
	v_or_b32_e32 v17, 0x2000, v33
	v_add_co_u32_e32 v0, vcc, v0, v17
	v_addc_co_u32_e32 v1, vcc, 0, v1, vcc
	s_waitcnt lgkmcnt(3)
	global_store_dwordx2 v[0:1], v[6:7], off
	s_waitcnt lgkmcnt(2)
	v_lshlrev_b64 v[0:1], 3, v[10:11]
	v_mov_b32_e32 v6, s63
	v_add_co_u32_e32 v0, vcc, s62, v0
	v_addc_co_u32_e32 v1, vcc, v6, v1, vcc
	v_add_u32_e32 v6, 0x2800, v33
	v_add_co_u32_e32 v0, vcc, v0, v6
	v_addc_co_u32_e32 v1, vcc, 0, v1, vcc
	global_store_dwordx2 v[0:1], v[8:9], off
	ds_read2st64_b64 v[6:9], v33 offset0:28 offset1:32
	s_waitcnt lgkmcnt(2)
	v_lshlrev_b64 v[0:1], 3, v[12:13]
	v_mov_b32_e32 v10, s63
	v_add_co_u32_e32 v0, vcc, s62, v0
	v_addc_co_u32_e32 v1, vcc, v10, v1, vcc
	v_add_u32_e32 v10, 0x3000, v33
	v_add_co_u32_e32 v0, vcc, v0, v10
	v_addc_co_u32_e32 v1, vcc, 0, v1, vcc
	s_waitcnt lgkmcnt(0)
	global_store_dwordx2 v[0:1], v[6:7], off
	v_lshlrev_b64 v[0:1], 3, v[14:15]
	v_mov_b32_e32 v6, s63
	v_add_co_u32_e32 v0, vcc, s62, v0
	v_addc_co_u32_e32 v1, vcc, v6, v1, vcc
	v_add_u32_e32 v6, 0x3800, v33
	v_add_co_u32_e32 v0, vcc, v0, v6
	v_addc_co_u32_e32 v1, vcc, 0, v1, vcc
	global_store_dwordx2 v[0:1], v[8:9], off
	ds_read_b64 v[0:1], v62
	ds_read2st64_b64 v[6:9], v33 offset0:36 offset1:40
	ds_read_b64 v[10:11], v63
	ds_read_b64 v[12:13], v64
	;; [unrolled: 1-line block ×3, first 2 shown]
	s_waitcnt lgkmcnt(4)
	v_lshlrev_b64 v[0:1], 3, v[0:1]
	v_mov_b32_e32 v17, s63
	v_add_co_u32_e32 v0, vcc, s62, v0
	v_addc_co_u32_e32 v1, vcc, v17, v1, vcc
	v_add_co_u32_e32 v0, vcc, v0, v16
	v_addc_co_u32_e32 v1, vcc, 0, v1, vcc
	s_waitcnt lgkmcnt(3)
	global_store_dwordx2 v[0:1], v[6:7], off
	s_waitcnt lgkmcnt(2)
	v_lshlrev_b64 v[0:1], 3, v[10:11]
	v_mov_b32_e32 v6, s63
	v_add_co_u32_e32 v0, vcc, s62, v0
	v_addc_co_u32_e32 v1, vcc, v6, v1, vcc
	v_lshlrev_b32_e32 v6, 3, v21
	v_add_co_u32_e32 v0, vcc, v0, v6
	v_addc_co_u32_e32 v1, vcc, 0, v1, vcc
	global_store_dwordx2 v[0:1], v[8:9], off
	ds_read2st64_b64 v[6:9], v33 offset0:44 offset1:48
	s_waitcnt lgkmcnt(2)
	v_lshlrev_b64 v[0:1], 3, v[12:13]
	v_mov_b32_e32 v10, s63
	v_add_co_u32_e32 v0, vcc, s62, v0
	v_addc_co_u32_e32 v1, vcc, v10, v1, vcc
	v_lshlrev_b32_e32 v10, 3, v31
	v_add_co_u32_e32 v0, vcc, v0, v10
	v_addc_co_u32_e32 v1, vcc, 0, v1, vcc
	s_waitcnt lgkmcnt(0)
	global_store_dwordx2 v[0:1], v[6:7], off
	v_lshlrev_b64 v[0:1], 3, v[14:15]
	v_mov_b32_e32 v6, s63
	v_add_co_u32_e32 v0, vcc, s62, v0
	v_addc_co_u32_e32 v1, vcc, v6, v1, vcc
	v_lshlrev_b32_e32 v6, 3, v50
	v_add_co_u32_e32 v0, vcc, v0, v6
	v_addc_co_u32_e32 v1, vcc, 0, v1, vcc
	global_store_dwordx2 v[0:1], v[8:9], off
.LBB11_171:
	s_and_b64 vcc, exec, s[0:1]
	s_cbranch_vccnz .LBB11_173
; %bb.172:
	s_endpgm
.LBB11_173:
	v_lshlrev_b64 v[0:1], 3, v[2:3]
	ds_read_b64 v[2:3], v33
	v_add_co_u32_e32 v4, vcc, v4, v32
	v_addc_co_u32_e32 v5, vcc, 0, v5, vcc
	v_mov_b32_e32 v6, s67
	v_add_co_u32_e32 v0, vcc, s66, v0
	v_addc_co_u32_e32 v1, vcc, v6, v1, vcc
	s_waitcnt lgkmcnt(0)
	v_add_co_u32_e32 v2, vcc, v4, v2
	v_addc_co_u32_e32 v3, vcc, v5, v3, vcc
	global_store_dwordx2 v[0:1], v[2:3], off
	s_endpgm
.LBB11_174:
	global_load_dwordx2 v[6:7], v[30:31], off
	s_or_b64 exec, exec, s[52:53]
                                        ; implicit-def: $vgpr8_vgpr9
	s_and_saveexec_b64 s[52:53], s[0:1]
	s_cbranch_execz .LBB11_91
.LBB11_175:
	global_load_dwordx2 v[8:9], v[30:31], off offset:512
	s_or_b64 exec, exec, s[52:53]
                                        ; implicit-def: $vgpr10_vgpr11
	s_and_saveexec_b64 s[0:1], s[2:3]
	s_cbranch_execz .LBB11_92
.LBB11_176:
	global_load_dwordx2 v[10:11], v[30:31], off offset:1024
	s_or_b64 exec, exec, s[0:1]
                                        ; implicit-def: $vgpr12_vgpr13
	s_and_saveexec_b64 s[0:1], s[50:51]
	s_cbranch_execz .LBB11_93
.LBB11_177:
	global_load_dwordx2 v[12:13], v[30:31], off offset:1536
	s_or_b64 exec, exec, s[0:1]
                                        ; implicit-def: $vgpr14_vgpr15
	s_and_saveexec_b64 s[0:1], s[8:9]
	s_cbranch_execz .LBB11_94
.LBB11_178:
	global_load_dwordx2 v[14:15], v[30:31], off offset:2048
	s_or_b64 exec, exec, s[0:1]
                                        ; implicit-def: $vgpr16_vgpr17
	s_and_saveexec_b64 s[0:1], s[12:13]
	s_cbranch_execz .LBB11_95
.LBB11_179:
	global_load_dwordx2 v[16:17], v[30:31], off offset:2560
	s_or_b64 exec, exec, s[0:1]
                                        ; implicit-def: $vgpr18_vgpr19
	s_and_saveexec_b64 s[0:1], s[16:17]
	s_cbranch_execz .LBB11_96
.LBB11_180:
	global_load_dwordx2 v[18:19], v[30:31], off offset:3072
	s_or_b64 exec, exec, s[0:1]
                                        ; implicit-def: $vgpr20_vgpr21
	s_and_saveexec_b64 s[0:1], s[20:21]
	s_cbranch_execz .LBB11_97
.LBB11_181:
	global_load_dwordx2 v[20:21], v[30:31], off offset:3584
	s_or_b64 exec, exec, s[0:1]
                                        ; implicit-def: $vgpr22_vgpr23
	s_and_saveexec_b64 s[0:1], s[22:23]
	s_cbranch_execz .LBB11_98
.LBB11_182:
	v_add_co_u32_e32 v22, vcc, 0x1000, v30
	v_addc_co_u32_e32 v23, vcc, 0, v31, vcc
	global_load_dwordx2 v[22:23], v[22:23], off
	s_or_b64 exec, exec, s[0:1]
                                        ; implicit-def: $vgpr24_vgpr25
	s_and_saveexec_b64 s[0:1], s[18:19]
	s_cbranch_execz .LBB11_99
.LBB11_183:
	v_add_co_u32_e32 v24, vcc, 0x1000, v30
	v_addc_co_u32_e32 v25, vcc, 0, v31, vcc
	global_load_dwordx2 v[24:25], v[24:25], off offset:512
	s_or_b64 exec, exec, s[0:1]
                                        ; implicit-def: $vgpr26_vgpr27
	s_and_saveexec_b64 s[0:1], s[14:15]
	s_cbranch_execz .LBB11_100
.LBB11_184:
	v_add_co_u32_e32 v26, vcc, 0x1000, v30
	v_addc_co_u32_e32 v27, vcc, 0, v31, vcc
	global_load_dwordx2 v[26:27], v[26:27], off offset:1024
	s_or_b64 exec, exec, s[0:1]
                                        ; implicit-def: $vgpr28_vgpr29
	s_and_saveexec_b64 s[0:1], s[10:11]
	s_cbranch_execz .LBB11_101
.LBB11_185:
	v_add_co_u32_e32 v28, vcc, 0x1000, v30
	v_addc_co_u32_e32 v29, vcc, 0, v31, vcc
	global_load_dwordx2 v[28:29], v[28:29], off offset:1536
	s_or_b64 exec, exec, s[0:1]
                                        ; implicit-def: $vgpr65
	s_and_saveexec_b64 s[0:1], s[24:25]
	s_cbranch_execz .LBB11_102
.LBB11_186:
	v_lshlrev_b32_e32 v30, 1, v2
	ds_read_u16 v30, v30 offset:2048
	s_movk_i32 s2, 0x8000
	v_mov_b32_e32 v31, 0x7fff
	s_waitcnt lgkmcnt(0)
	v_cmp_ne_u16_e32 vcc, s2, v30
	v_cndmask_b32_e32 v30, v31, v30, vcc
	v_lshrrev_b32_sdwa v30, s68, v30 dst_sel:DWORD dst_unused:UNUSED_PAD src0_sel:DWORD src1_sel:WORD_0
	v_and_b32_e32 v65, s74, v30
	s_or_b64 exec, exec, s[0:1]
                                        ; implicit-def: $vgpr64
	s_and_saveexec_b64 s[0:1], s[26:27]
	s_cbranch_execz .LBB11_103
.LBB11_187:
	v_lshlrev_b32_e32 v30, 1, v2
	ds_read_u16 v30, v30 offset:2560
	s_movk_i32 s2, 0x8000
	v_mov_b32_e32 v31, 0x7fff
	s_waitcnt lgkmcnt(0)
	v_cmp_ne_u16_e32 vcc, s2, v30
	v_cndmask_b32_e32 v30, v31, v30, vcc
	v_lshrrev_b32_sdwa v30, s68, v30 dst_sel:DWORD dst_unused:UNUSED_PAD src0_sel:DWORD src1_sel:WORD_0
	v_and_b32_e32 v64, s74, v30
	s_or_b64 exec, exec, s[0:1]
                                        ; implicit-def: $vgpr63
	s_and_saveexec_b64 s[0:1], s[28:29]
	s_cbranch_execz .LBB11_104
.LBB11_188:
	v_lshlrev_b32_e32 v30, 1, v2
	ds_read_u16 v30, v30 offset:3072
	s_movk_i32 s2, 0x8000
	v_mov_b32_e32 v31, 0x7fff
	s_waitcnt lgkmcnt(0)
	v_cmp_ne_u16_e32 vcc, s2, v30
	v_cndmask_b32_e32 v30, v31, v30, vcc
	v_lshrrev_b32_sdwa v30, s68, v30 dst_sel:DWORD dst_unused:UNUSED_PAD src0_sel:DWORD src1_sel:WORD_0
	v_and_b32_e32 v63, s74, v30
	s_or_b64 exec, exec, s[0:1]
                                        ; implicit-def: $vgpr62
	s_and_saveexec_b64 s[0:1], s[30:31]
	s_cbranch_execz .LBB11_105
.LBB11_189:
	v_lshlrev_b32_e32 v30, 1, v2
	ds_read_u16 v30, v30 offset:3584
	s_movk_i32 s2, 0x8000
	v_mov_b32_e32 v31, 0x7fff
	s_waitcnt lgkmcnt(0)
	v_cmp_ne_u16_e32 vcc, s2, v30
	v_cndmask_b32_e32 v30, v31, v30, vcc
	v_lshrrev_b32_sdwa v30, s68, v30 dst_sel:DWORD dst_unused:UNUSED_PAD src0_sel:DWORD src1_sel:WORD_0
	v_and_b32_e32 v62, s74, v30
	s_or_b64 exec, exec, s[0:1]
                                        ; implicit-def: $vgpr61
	s_and_saveexec_b64 s[0:1], s[34:35]
	s_cbranch_execz .LBB11_106
.LBB11_190:
	v_lshlrev_b32_e32 v30, 1, v2
	ds_read_u16 v30, v30 offset:4096
	s_movk_i32 s2, 0x8000
	v_mov_b32_e32 v31, 0x7fff
	s_waitcnt lgkmcnt(0)
	v_cmp_ne_u16_e32 vcc, s2, v30
	v_cndmask_b32_e32 v30, v31, v30, vcc
	v_lshrrev_b32_sdwa v30, s68, v30 dst_sel:DWORD dst_unused:UNUSED_PAD src0_sel:DWORD src1_sel:WORD_0
	v_and_b32_e32 v61, s74, v30
	s_or_b64 exec, exec, s[0:1]
                                        ; implicit-def: $vgpr60
	s_and_saveexec_b64 s[0:1], s[36:37]
	s_cbranch_execz .LBB11_107
.LBB11_191:
	v_lshlrev_b32_e32 v30, 1, v2
	ds_read_u16 v30, v30 offset:4608
	s_movk_i32 s2, 0x8000
	v_mov_b32_e32 v31, 0x7fff
	s_waitcnt lgkmcnt(0)
	v_cmp_ne_u16_e32 vcc, s2, v30
	v_cndmask_b32_e32 v30, v31, v30, vcc
	v_lshrrev_b32_sdwa v30, s68, v30 dst_sel:DWORD dst_unused:UNUSED_PAD src0_sel:DWORD src1_sel:WORD_0
	v_and_b32_e32 v60, s74, v30
	s_or_b64 exec, exec, s[0:1]
                                        ; implicit-def: $vgpr59
	s_and_saveexec_b64 s[0:1], s[38:39]
	s_cbranch_execz .LBB11_108
.LBB11_192:
	v_lshlrev_b32_e32 v30, 1, v2
	ds_read_u16 v30, v30 offset:5120
	s_movk_i32 s2, 0x8000
	v_mov_b32_e32 v31, 0x7fff
	s_waitcnt lgkmcnt(0)
	v_cmp_ne_u16_e32 vcc, s2, v30
	v_cndmask_b32_e32 v30, v31, v30, vcc
	v_lshrrev_b32_sdwa v30, s68, v30 dst_sel:DWORD dst_unused:UNUSED_PAD src0_sel:DWORD src1_sel:WORD_0
	v_and_b32_e32 v59, s74, v30
	s_or_b64 exec, exec, s[0:1]
                                        ; implicit-def: $vgpr58
	s_and_saveexec_b64 s[0:1], s[40:41]
	s_cbranch_execz .LBB11_109
.LBB11_193:
	v_lshlrev_b32_e32 v30, 1, v2
	ds_read_u16 v30, v30 offset:5632
	s_movk_i32 s2, 0x8000
	v_mov_b32_e32 v31, 0x7fff
	s_waitcnt lgkmcnt(0)
	v_cmp_ne_u16_e32 vcc, s2, v30
	v_cndmask_b32_e32 v30, v31, v30, vcc
	v_lshrrev_b32_sdwa v30, s68, v30 dst_sel:DWORD dst_unused:UNUSED_PAD src0_sel:DWORD src1_sel:WORD_0
	v_and_b32_e32 v58, s74, v30
	s_or_b64 exec, exec, s[0:1]
                                        ; implicit-def: $vgpr57
	s_and_saveexec_b64 s[0:1], s[42:43]
	s_cbranch_execnz .LBB11_110
	s_branch .LBB11_111
.LBB11_194:
	v_lshlrev_b32_e32 v31, 1, v2
	ds_read_u16 v31, v31 offset:6656
	s_movk_i32 s2, 0x8000
	v_mov_b32_e32 v56, 0x7fff
	s_waitcnt lgkmcnt(0)
	v_cmp_ne_u16_e32 vcc, s2, v31
	v_cndmask_b32_e32 v31, v56, v31, vcc
	v_lshrrev_b32_sdwa v31, s68, v31 dst_sel:DWORD dst_unused:UNUSED_PAD src0_sel:DWORD src1_sel:WORD_0
	v_and_b32_e32 v56, s74, v31
	s_or_b64 exec, exec, s[0:1]
	s_and_saveexec_b64 s[0:1], s[46:47]
	s_cbranch_execz .LBB11_113
.LBB11_195:
	v_lshlrev_b32_e32 v30, 1, v2
	ds_read_u16 v30, v30 offset:7168
	s_movk_i32 s2, 0x8000
	v_mov_b32_e32 v31, 0x7fff
	s_waitcnt lgkmcnt(0)
	v_cmp_ne_u16_e32 vcc, s2, v30
	v_cndmask_b32_e32 v30, v31, v30, vcc
	v_lshrrev_b32_sdwa v30, s68, v30 dst_sel:DWORD dst_unused:UNUSED_PAD src0_sel:DWORD src1_sel:WORD_0
	v_and_b32_e32 v30, s74, v30
	s_or_b64 exec, exec, s[0:1]
	v_mov_b32_e32 v31, 0
	s_and_saveexec_b64 s[0:1], s[48:49]
	s_cbranch_execnz .LBB11_114
	s_branch .LBB11_115
.LBB11_196:
	v_lshlrev_b32_e32 v6, 3, v65
	ds_read_b64 v[6:7], v6
	ds_read_b64 v[8:9], v33 offset:2048
	v_mov_b32_e32 v10, s63
	s_waitcnt lgkmcnt(1)
	v_lshlrev_b64 v[6:7], 3, v[6:7]
	v_add_co_u32_e32 v6, vcc, s62, v6
	v_addc_co_u32_e32 v7, vcc, v10, v7, vcc
	v_add_co_u32_e32 v6, vcc, v6, v33
	v_addc_co_u32_e32 v7, vcc, 0, v7, vcc
	s_waitcnt lgkmcnt(0)
	global_store_dwordx2 v[6:7], v[8:9], off
	s_or_b64 exec, exec, s[0:1]
	s_and_saveexec_b64 s[0:1], s[26:27]
	s_cbranch_execz .LBB11_117
.LBB11_197:
	v_lshlrev_b32_e32 v6, 3, v64
	ds_read_b64 v[6:7], v6
	v_lshlrev_b32_e32 v10, 3, v2
	ds_read_b64 v[8:9], v10 offset:4096
	v_mov_b32_e32 v11, s63
	s_waitcnt lgkmcnt(1)
	v_lshlrev_b64 v[6:7], 3, v[6:7]
	v_add_co_u32_e32 v6, vcc, s62, v6
	v_addc_co_u32_e32 v7, vcc, v11, v7, vcc
	v_add_co_u32_e32 v6, vcc, v6, v10
	v_addc_co_u32_e32 v7, vcc, 0, v7, vcc
	s_waitcnt lgkmcnt(0)
	global_store_dwordx2 v[6:7], v[8:9], off offset:2048
	s_or_b64 exec, exec, s[0:1]
	s_and_saveexec_b64 s[0:1], s[28:29]
	s_cbranch_execz .LBB11_118
.LBB11_198:
	v_lshlrev_b32_e32 v6, 3, v63
	ds_read_b64 v[6:7], v6
	v_lshlrev_b32_e32 v8, 3, v2
	ds_read_b64 v[8:9], v8 offset:6144
	v_mov_b32_e32 v10, s63
	s_waitcnt lgkmcnt(1)
	v_lshlrev_b64 v[6:7], 3, v[6:7]
	v_add_co_u32_e32 v6, vcc, s62, v6
	v_addc_co_u32_e32 v7, vcc, v10, v7, vcc
	v_lshlrev_b32_e32 v10, 3, v46
	v_add_co_u32_e32 v6, vcc, v6, v10
	v_addc_co_u32_e32 v7, vcc, 0, v7, vcc
	s_waitcnt lgkmcnt(0)
	global_store_dwordx2 v[6:7], v[8:9], off
	s_or_b64 exec, exec, s[0:1]
	s_and_saveexec_b64 s[0:1], s[30:31]
	s_cbranch_execz .LBB11_119
.LBB11_199:
	v_lshlrev_b32_e32 v6, 3, v62
	ds_read_b64 v[6:7], v6
	v_lshlrev_b32_e32 v8, 3, v2
	ds_read_b64 v[8:9], v8 offset:8192
	v_mov_b32_e32 v10, s63
	s_waitcnt lgkmcnt(1)
	v_lshlrev_b64 v[6:7], 3, v[6:7]
	v_add_co_u32_e32 v6, vcc, s62, v6
	v_addc_co_u32_e32 v7, vcc, v10, v7, vcc
	v_lshlrev_b32_e32 v10, 3, v47
	v_add_co_u32_e32 v6, vcc, v6, v10
	v_addc_co_u32_e32 v7, vcc, 0, v7, vcc
	s_waitcnt lgkmcnt(0)
	global_store_dwordx2 v[6:7], v[8:9], off
	s_or_b64 exec, exec, s[0:1]
	s_and_saveexec_b64 s[0:1], s[34:35]
	s_cbranch_execz .LBB11_120
.LBB11_200:
	v_lshlrev_b32_e32 v6, 3, v61
	ds_read_b64 v[6:7], v6
	v_lshlrev_b32_e32 v8, 3, v2
	ds_read_b64 v[8:9], v8 offset:10240
	v_mov_b32_e32 v10, s63
	s_waitcnt lgkmcnt(1)
	v_lshlrev_b64 v[6:7], 3, v[6:7]
	v_add_co_u32_e32 v6, vcc, s62, v6
	v_addc_co_u32_e32 v7, vcc, v10, v7, vcc
	v_lshlrev_b32_e32 v10, 3, v48
	v_add_co_u32_e32 v6, vcc, v6, v10
	v_addc_co_u32_e32 v7, vcc, 0, v7, vcc
	s_waitcnt lgkmcnt(0)
	global_store_dwordx2 v[6:7], v[8:9], off
	s_or_b64 exec, exec, s[0:1]
	s_and_saveexec_b64 s[0:1], s[36:37]
	s_cbranch_execz .LBB11_121
.LBB11_201:
	v_lshlrev_b32_e32 v6, 3, v60
	ds_read_b64 v[6:7], v6
	v_lshlrev_b32_e32 v8, 3, v2
	ds_read_b64 v[8:9], v8 offset:12288
	v_mov_b32_e32 v10, s63
	s_waitcnt lgkmcnt(1)
	v_lshlrev_b64 v[6:7], 3, v[6:7]
	v_add_co_u32_e32 v6, vcc, s62, v6
	v_addc_co_u32_e32 v7, vcc, v10, v7, vcc
	v_lshlrev_b32_e32 v10, 3, v49
	v_add_co_u32_e32 v6, vcc, v6, v10
	v_addc_co_u32_e32 v7, vcc, 0, v7, vcc
	s_waitcnt lgkmcnt(0)
	global_store_dwordx2 v[6:7], v[8:9], off
	s_or_b64 exec, exec, s[0:1]
	s_and_saveexec_b64 s[0:1], s[38:39]
	s_cbranch_execz .LBB11_122
.LBB11_202:
	v_lshlrev_b32_e32 v6, 3, v59
	ds_read_b64 v[6:7], v6
	v_lshlrev_b32_e32 v8, 3, v2
	ds_read_b64 v[8:9], v8 offset:14336
	v_mov_b32_e32 v10, s63
	s_waitcnt lgkmcnt(1)
	v_lshlrev_b64 v[6:7], 3, v[6:7]
	v_add_co_u32_e32 v6, vcc, s62, v6
	v_addc_co_u32_e32 v7, vcc, v10, v7, vcc
	v_lshlrev_b32_e32 v10, 3, v50
	v_add_co_u32_e32 v6, vcc, v6, v10
	v_addc_co_u32_e32 v7, vcc, 0, v7, vcc
	s_waitcnt lgkmcnt(0)
	global_store_dwordx2 v[6:7], v[8:9], off
	s_or_b64 exec, exec, s[0:1]
	s_and_saveexec_b64 s[0:1], s[40:41]
	s_cbranch_execz .LBB11_123
.LBB11_203:
	v_lshlrev_b32_e32 v6, 3, v58
	ds_read_b64 v[6:7], v6
	v_lshlrev_b32_e32 v8, 3, v2
	ds_read_b64 v[8:9], v8 offset:16384
	v_mov_b32_e32 v10, s63
	s_waitcnt lgkmcnt(1)
	v_lshlrev_b64 v[6:7], 3, v[6:7]
	v_add_co_u32_e32 v6, vcc, s62, v6
	v_addc_co_u32_e32 v7, vcc, v10, v7, vcc
	v_lshlrev_b32_e32 v10, 3, v51
	v_add_co_u32_e32 v6, vcc, v6, v10
	v_addc_co_u32_e32 v7, vcc, 0, v7, vcc
	s_waitcnt lgkmcnt(0)
	global_store_dwordx2 v[6:7], v[8:9], off
	s_or_b64 exec, exec, s[0:1]
	s_and_saveexec_b64 s[0:1], s[42:43]
	s_cbranch_execz .LBB11_124
.LBB11_204:
	v_lshlrev_b32_e32 v6, 3, v57
	ds_read_b64 v[6:7], v6
	v_lshlrev_b32_e32 v8, 3, v2
	ds_read_b64 v[8:9], v8 offset:18432
	v_mov_b32_e32 v10, s63
	s_waitcnt lgkmcnt(1)
	v_lshlrev_b64 v[6:7], 3, v[6:7]
	v_add_co_u32_e32 v6, vcc, s62, v6
	v_addc_co_u32_e32 v7, vcc, v10, v7, vcc
	v_lshlrev_b32_e32 v10, 3, v52
	v_add_co_u32_e32 v6, vcc, v6, v10
	v_addc_co_u32_e32 v7, vcc, 0, v7, vcc
	s_waitcnt lgkmcnt(0)
	global_store_dwordx2 v[6:7], v[8:9], off
	s_or_b64 exec, exec, s[0:1]
	s_and_saveexec_b64 s[0:1], s[44:45]
	s_cbranch_execz .LBB11_125
.LBB11_205:
	v_lshlrev_b32_e32 v6, 3, v56
	ds_read_b64 v[6:7], v6
	v_lshlrev_b32_e32 v8, 3, v2
	ds_read_b64 v[8:9], v8 offset:20480
	v_mov_b32_e32 v10, s63
	s_waitcnt lgkmcnt(1)
	v_lshlrev_b64 v[6:7], 3, v[6:7]
	v_add_co_u32_e32 v6, vcc, s62, v6
	v_addc_co_u32_e32 v7, vcc, v10, v7, vcc
	v_lshlrev_b32_e32 v10, 3, v53
	v_add_co_u32_e32 v6, vcc, v6, v10
	v_addc_co_u32_e32 v7, vcc, 0, v7, vcc
	s_waitcnt lgkmcnt(0)
	global_store_dwordx2 v[6:7], v[8:9], off
	s_or_b64 exec, exec, s[0:1]
	s_and_saveexec_b64 s[0:1], s[46:47]
	s_cbranch_execz .LBB11_126
.LBB11_206:
	v_lshlrev_b32_e32 v6, 3, v30
	ds_read_b64 v[6:7], v6
	v_lshlrev_b32_e32 v8, 3, v2
	ds_read_b64 v[8:9], v8 offset:22528
	v_mov_b32_e32 v10, s63
	s_waitcnt lgkmcnt(1)
	v_lshlrev_b64 v[6:7], 3, v[6:7]
	v_add_co_u32_e32 v6, vcc, s62, v6
	v_addc_co_u32_e32 v7, vcc, v10, v7, vcc
	v_lshlrev_b32_e32 v10, 3, v54
	v_add_co_u32_e32 v6, vcc, v6, v10
	v_addc_co_u32_e32 v7, vcc, 0, v7, vcc
	s_waitcnt lgkmcnt(0)
	global_store_dwordx2 v[6:7], v[8:9], off
	s_or_b64 exec, exec, s[0:1]
	s_and_saveexec_b64 s[0:1], s[48:49]
	s_cbranch_execnz .LBB11_127
	s_branch .LBB11_128
	.section	.rodata,"a",@progbits
	.p2align	6, 0x0
	.amdhsa_kernel _ZN7rocprim17ROCPRIM_304000_NS6detail25onesweep_iteration_kernelINS1_34wrapped_radix_sort_onesweep_configINS0_14default_configE12hip_bfloat16N2at4cuda3cub6detail10OpaqueTypeILi8EEEEELb1EPKS5_PS5_PKSB_PSB_mNS0_19identity_decomposerEEEvT1_T2_T3_T4_jPT5_SP_PNS1_23onesweep_lookback_stateET6_jjj
		.amdhsa_group_segment_fixed_size 26624
		.amdhsa_private_segment_fixed_size 0
		.amdhsa_kernarg_size 336
		.amdhsa_user_sgpr_count 6
		.amdhsa_user_sgpr_private_segment_buffer 1
		.amdhsa_user_sgpr_dispatch_ptr 0
		.amdhsa_user_sgpr_queue_ptr 0
		.amdhsa_user_sgpr_kernarg_segment_ptr 1
		.amdhsa_user_sgpr_dispatch_id 0
		.amdhsa_user_sgpr_flat_scratch_init 0
		.amdhsa_user_sgpr_kernarg_preload_length 0
		.amdhsa_user_sgpr_kernarg_preload_offset 0
		.amdhsa_user_sgpr_private_segment_size 0
		.amdhsa_uses_dynamic_stack 0
		.amdhsa_system_sgpr_private_segment_wavefront_offset 0
		.amdhsa_system_sgpr_workgroup_id_x 1
		.amdhsa_system_sgpr_workgroup_id_y 0
		.amdhsa_system_sgpr_workgroup_id_z 0
		.amdhsa_system_sgpr_workgroup_info 0
		.amdhsa_system_vgpr_workitem_id 2
		.amdhsa_next_free_vgpr 67
		.amdhsa_next_free_sgpr 75
		.amdhsa_accum_offset 68
		.amdhsa_reserve_vcc 1
		.amdhsa_reserve_flat_scratch 0
		.amdhsa_float_round_mode_32 0
		.amdhsa_float_round_mode_16_64 0
		.amdhsa_float_denorm_mode_32 3
		.amdhsa_float_denorm_mode_16_64 3
		.amdhsa_dx10_clamp 1
		.amdhsa_ieee_mode 1
		.amdhsa_fp16_overflow 0
		.amdhsa_tg_split 0
		.amdhsa_exception_fp_ieee_invalid_op 0
		.amdhsa_exception_fp_denorm_src 0
		.amdhsa_exception_fp_ieee_div_zero 0
		.amdhsa_exception_fp_ieee_overflow 0
		.amdhsa_exception_fp_ieee_underflow 0
		.amdhsa_exception_fp_ieee_inexact 0
		.amdhsa_exception_int_div_zero 0
	.end_amdhsa_kernel
	.section	.text._ZN7rocprim17ROCPRIM_304000_NS6detail25onesweep_iteration_kernelINS1_34wrapped_radix_sort_onesweep_configINS0_14default_configE12hip_bfloat16N2at4cuda3cub6detail10OpaqueTypeILi8EEEEELb1EPKS5_PS5_PKSB_PSB_mNS0_19identity_decomposerEEEvT1_T2_T3_T4_jPT5_SP_PNS1_23onesweep_lookback_stateET6_jjj,"axG",@progbits,_ZN7rocprim17ROCPRIM_304000_NS6detail25onesweep_iteration_kernelINS1_34wrapped_radix_sort_onesweep_configINS0_14default_configE12hip_bfloat16N2at4cuda3cub6detail10OpaqueTypeILi8EEEEELb1EPKS5_PS5_PKSB_PSB_mNS0_19identity_decomposerEEEvT1_T2_T3_T4_jPT5_SP_PNS1_23onesweep_lookback_stateET6_jjj,comdat
.Lfunc_end11:
	.size	_ZN7rocprim17ROCPRIM_304000_NS6detail25onesweep_iteration_kernelINS1_34wrapped_radix_sort_onesweep_configINS0_14default_configE12hip_bfloat16N2at4cuda3cub6detail10OpaqueTypeILi8EEEEELb1EPKS5_PS5_PKSB_PSB_mNS0_19identity_decomposerEEEvT1_T2_T3_T4_jPT5_SP_PNS1_23onesweep_lookback_stateET6_jjj, .Lfunc_end11-_ZN7rocprim17ROCPRIM_304000_NS6detail25onesweep_iteration_kernelINS1_34wrapped_radix_sort_onesweep_configINS0_14default_configE12hip_bfloat16N2at4cuda3cub6detail10OpaqueTypeILi8EEEEELb1EPKS5_PS5_PKSB_PSB_mNS0_19identity_decomposerEEEvT1_T2_T3_T4_jPT5_SP_PNS1_23onesweep_lookback_stateET6_jjj
                                        ; -- End function
	.section	.AMDGPU.csdata,"",@progbits
; Kernel info:
; codeLenInByte = 21016
; NumSgprs: 79
; NumVgprs: 67
; NumAgprs: 0
; TotalNumVgprs: 67
; ScratchSize: 0
; MemoryBound: 0
; FloatMode: 240
; IeeeMode: 1
; LDSByteSize: 26624 bytes/workgroup (compile time only)
; SGPRBlocks: 9
; VGPRBlocks: 8
; NumSGPRsForWavesPerEU: 79
; NumVGPRsForWavesPerEU: 67
; AccumOffset: 68
; Occupancy: 2
; WaveLimiterHint : 1
; COMPUTE_PGM_RSRC2:SCRATCH_EN: 0
; COMPUTE_PGM_RSRC2:USER_SGPR: 6
; COMPUTE_PGM_RSRC2:TRAP_HANDLER: 0
; COMPUTE_PGM_RSRC2:TGID_X_EN: 1
; COMPUTE_PGM_RSRC2:TGID_Y_EN: 0
; COMPUTE_PGM_RSRC2:TGID_Z_EN: 0
; COMPUTE_PGM_RSRC2:TIDIG_COMP_CNT: 2
; COMPUTE_PGM_RSRC3_GFX90A:ACCUM_OFFSET: 16
; COMPUTE_PGM_RSRC3_GFX90A:TG_SPLIT: 0
	.section	.text._ZN7rocprim17ROCPRIM_304000_NS6detail25onesweep_iteration_kernelINS1_34wrapped_radix_sort_onesweep_configINS0_14default_configE12hip_bfloat16N2at4cuda3cub6detail10OpaqueTypeILi8EEEEELb1EPS5_SD_PSB_SE_mNS0_19identity_decomposerEEEvT1_T2_T3_T4_jPT5_SL_PNS1_23onesweep_lookback_stateET6_jjj,"axG",@progbits,_ZN7rocprim17ROCPRIM_304000_NS6detail25onesweep_iteration_kernelINS1_34wrapped_radix_sort_onesweep_configINS0_14default_configE12hip_bfloat16N2at4cuda3cub6detail10OpaqueTypeILi8EEEEELb1EPS5_SD_PSB_SE_mNS0_19identity_decomposerEEEvT1_T2_T3_T4_jPT5_SL_PNS1_23onesweep_lookback_stateET6_jjj,comdat
	.protected	_ZN7rocprim17ROCPRIM_304000_NS6detail25onesweep_iteration_kernelINS1_34wrapped_radix_sort_onesweep_configINS0_14default_configE12hip_bfloat16N2at4cuda3cub6detail10OpaqueTypeILi8EEEEELb1EPS5_SD_PSB_SE_mNS0_19identity_decomposerEEEvT1_T2_T3_T4_jPT5_SL_PNS1_23onesweep_lookback_stateET6_jjj ; -- Begin function _ZN7rocprim17ROCPRIM_304000_NS6detail25onesweep_iteration_kernelINS1_34wrapped_radix_sort_onesweep_configINS0_14default_configE12hip_bfloat16N2at4cuda3cub6detail10OpaqueTypeILi8EEEEELb1EPS5_SD_PSB_SE_mNS0_19identity_decomposerEEEvT1_T2_T3_T4_jPT5_SL_PNS1_23onesweep_lookback_stateET6_jjj
	.globl	_ZN7rocprim17ROCPRIM_304000_NS6detail25onesweep_iteration_kernelINS1_34wrapped_radix_sort_onesweep_configINS0_14default_configE12hip_bfloat16N2at4cuda3cub6detail10OpaqueTypeILi8EEEEELb1EPS5_SD_PSB_SE_mNS0_19identity_decomposerEEEvT1_T2_T3_T4_jPT5_SL_PNS1_23onesweep_lookback_stateET6_jjj
	.p2align	8
	.type	_ZN7rocprim17ROCPRIM_304000_NS6detail25onesweep_iteration_kernelINS1_34wrapped_radix_sort_onesweep_configINS0_14default_configE12hip_bfloat16N2at4cuda3cub6detail10OpaqueTypeILi8EEEEELb1EPS5_SD_PSB_SE_mNS0_19identity_decomposerEEEvT1_T2_T3_T4_jPT5_SL_PNS1_23onesweep_lookback_stateET6_jjj,@function
_ZN7rocprim17ROCPRIM_304000_NS6detail25onesweep_iteration_kernelINS1_34wrapped_radix_sort_onesweep_configINS0_14default_configE12hip_bfloat16N2at4cuda3cub6detail10OpaqueTypeILi8EEEEELb1EPS5_SD_PSB_SE_mNS0_19identity_decomposerEEEvT1_T2_T3_T4_jPT5_SL_PNS1_23onesweep_lookback_stateET6_jjj: ; @_ZN7rocprim17ROCPRIM_304000_NS6detail25onesweep_iteration_kernelINS1_34wrapped_radix_sort_onesweep_configINS0_14default_configE12hip_bfloat16N2at4cuda3cub6detail10OpaqueTypeILi8EEEEELb1EPS5_SD_PSB_SE_mNS0_19identity_decomposerEEEvT1_T2_T3_T4_jPT5_SL_PNS1_23onesweep_lookback_stateET6_jjj
; %bb.0:
	s_load_dwordx4 s[68:71], s[4:5], 0x44
	s_load_dwordx8 s[56:63], s[4:5], 0x0
	s_load_dwordx4 s[64:67], s[4:5], 0x28
	s_load_dwordx2 s[72:73], s[4:5], 0x38
	s_mov_b32 s7, s6
	s_waitcnt lgkmcnt(0)
	s_cmp_ge_u32 s6, s70
	s_mul_i32 s54, s6, 0xc00
	v_mbcnt_lo_u32_b32 v1, -1, 0
	s_cbranch_scc0 .LBB12_129
; %bb.1:
	s_load_dword s2, s[4:5], 0x20
	s_mulk_i32 s70, 0xf400
	s_mov_b32 s55, 0
	s_lshl_b64 s[0:1], s[54:55], 1
	v_and_b32_e32 v2, 0x3ff, v0
	s_waitcnt lgkmcnt(0)
	s_add_i32 s70, s70, s2
	s_add_u32 s0, s56, s0
	v_mbcnt_hi_u32_b32 v13, -1, v1
	s_addc_u32 s1, s57, s1
	v_and_b32_e32 v3, 0xc0, v2
	v_lshlrev_b32_e32 v4, 1, v13
	v_mul_u32_u24_e32 v12, 12, v3
	v_mov_b32_e32 v5, s1
	v_add_co_u32_e32 v4, vcc, s0, v4
	v_addc_co_u32_e32 v5, vcc, 0, v5, vcc
	v_lshlrev_b32_e32 v6, 1, v12
	v_add_co_u32_e32 v4, vcc, v4, v6
	v_addc_co_u32_e32 v5, vcc, 0, v5, vcc
	v_or_b32_e32 v7, v13, v12
	v_cmp_gt_u32_e32 vcc, s70, v7
	v_mov_b32_e32 v10, -1
	v_mov_b32_e32 v6, -1
	s_and_saveexec_b64 s[0:1], vcc
	s_cbranch_execz .LBB12_3
; %bb.2:
	global_load_ushort v6, v[4:5], off
.LBB12_3:
	s_or_b64 exec, exec, s[0:1]
	v_add_u32_e32 v8, 64, v7
	v_cmp_gt_u32_e64 s[0:1], s70, v8
	s_and_saveexec_b64 s[2:3], s[0:1]
	s_cbranch_execz .LBB12_5
; %bb.4:
	global_load_ushort v10, v[4:5], off offset:128
.LBB12_5:
	s_or_b64 exec, exec, s[2:3]
	v_add_u32_e32 v8, 0x80, v7
	v_cmp_gt_u32_e64 s[2:3], s70, v8
	v_mov_b32_e32 v24, -1
	v_mov_b32_e32 v19, -1
	s_and_saveexec_b64 s[8:9], s[2:3]
	s_cbranch_execz .LBB12_7
; %bb.6:
	global_load_ushort v19, v[4:5], off offset:256
.LBB12_7:
	s_or_b64 exec, exec, s[8:9]
	v_add_u32_e32 v8, 0xc0, v7
	v_cmp_gt_u32_e64 s[50:51], s70, v8
	s_and_saveexec_b64 s[8:9], s[50:51]
	s_cbranch_execz .LBB12_9
; %bb.8:
	global_load_ushort v24, v[4:5], off offset:384
.LBB12_9:
	s_or_b64 exec, exec, s[8:9]
	v_add_u32_e32 v8, 0x100, v7
	v_cmp_gt_u32_e64 s[8:9], s70, v8
	v_mov_b32_e32 v36, -1
	v_mov_b32_e32 v30, -1
	s_and_saveexec_b64 s[10:11], s[8:9]
	s_cbranch_execz .LBB12_11
; %bb.10:
	global_load_ushort v30, v[4:5], off offset:512
.LBB12_11:
	;; [unrolled: 18-line block ×5, first 2 shown]
	s_or_b64 exec, exec, s[10:11]
	v_add_u32_e32 v7, 0x2c0, v7
	v_cmp_gt_u32_e64 s[10:11], s70, v7
	s_and_saveexec_b64 s[24:25], s[10:11]
	s_cbranch_execz .LBB12_25
; %bb.24:
	global_load_ushort v16, v[4:5], off offset:1408
.LBB12_25:
	s_or_b64 exec, exec, s[24:25]
	s_load_dword s24, s[4:5], 0x5c
	s_load_dword s33, s[4:5], 0x50
	s_add_u32 s25, s4, 0x50
	s_addc_u32 s26, s5, 0
	v_mov_b32_e32 v4, 0
	s_waitcnt lgkmcnt(0)
	s_lshr_b32 s27, s24, 16
	s_cmp_lt_u32 s6, s33
	s_cselect_b32 s24, 12, 18
	s_add_u32 s24, s25, s24
	s_addc_u32 s25, s26, 0
	global_load_ushort v7, v4, s[24:25]
	v_mov_b32_e32 v15, 0x7fff
	s_waitcnt vmcnt(1)
	v_cmp_gt_i16_e64 s[24:25], 0, v6
	v_mul_u32_u24_e32 v8, 5, v2
	v_cndmask_b32_e64 v14, v15, 0, s[24:25]
	s_movk_i32 s28, 0x8000
	v_lshlrev_b32_e32 v9, 2, v8
	v_xor_b32_e32 v8, v14, v6
	v_cmp_ne_u16_e64 s[24:25], s28, v8
	v_cndmask_b32_e64 v6, v15, v8, s[24:25]
	s_lshl_b32 s24, -1, s69
	v_lshrrev_b32_sdwa v6, s68, v6 dst_sel:DWORD dst_unused:UNUSED_PAD src0_sel:DWORD src1_sel:WORD_0
	s_not_b32 s74, s24
	v_and_b32_e32 v14, s74, v6
	v_and_b32_e32 v6, 1, v14
	v_bfe_u32 v5, v0, 10, 10
	v_bfe_u32 v11, v0, 20, 10
	v_add_co_u32_e64 v18, s[24:25], -1, v6
	v_mad_u32_u24 v11, v11, s27, v5
	v_lshlrev_b32_e32 v5, 30, v14
	v_addc_co_u32_e64 v20, s[24:25], 0, -1, s[24:25]
	v_cmp_ne_u32_e64 s[24:25], 0, v6
	v_cmp_gt_i64_e64 s[26:27], 0, v[4:5]
	v_not_b32_e32 v6, v5
	v_lshlrev_b32_e32 v5, 29, v14
	v_xor_b32_e32 v20, s25, v20
	v_xor_b32_e32 v18, s24, v18
	v_ashrrev_i32_e32 v6, 31, v6
	v_cmp_gt_i64_e64 s[24:25], 0, v[4:5]
	v_not_b32_e32 v22, v5
	v_lshlrev_b32_e32 v5, 28, v14
	v_and_b32_e32 v20, exec_hi, v20
	v_and_b32_e32 v18, exec_lo, v18
	v_xor_b32_e32 v23, s27, v6
	v_xor_b32_e32 v6, s26, v6
	v_ashrrev_i32_e32 v22, 31, v22
	v_cmp_gt_i64_e64 s[26:27], 0, v[4:5]
	v_not_b32_e32 v25, v5
	v_lshlrev_b32_e32 v5, 27, v14
	v_and_b32_e32 v20, v20, v23
	v_and_b32_e32 v6, v18, v6
	v_xor_b32_e32 v18, s25, v22
	v_xor_b32_e32 v22, s24, v22
	v_ashrrev_i32_e32 v23, 31, v25
	v_cmp_gt_i64_e64 s[24:25], 0, v[4:5]
	v_not_b32_e32 v25, v5
	v_lshlrev_b32_e32 v5, 26, v14
	v_and_b32_e32 v18, v20, v18
	v_and_b32_e32 v6, v6, v22
	v_xor_b32_e32 v20, s27, v23
	v_xor_b32_e32 v22, s26, v23
	v_ashrrev_i32_e32 v23, 31, v25
	v_not_b32_e32 v25, v5
	v_cmp_gt_i64_e64 s[26:27], 0, v[4:5]
	v_lshlrev_b32_e32 v5, 25, v14
	v_and_b32_e32 v18, v18, v20
	v_and_b32_e32 v6, v6, v22
	v_xor_b32_e32 v20, s25, v23
	v_xor_b32_e32 v22, s24, v23
	v_ashrrev_i32_e32 v23, 31, v25
	v_cmp_gt_i64_e64 s[24:25], 0, v[4:5]
	v_not_b32_e32 v5, v5
	v_and_b32_e32 v18, v18, v20
	v_and_b32_e32 v6, v6, v22
	v_xor_b32_e32 v20, s27, v23
	v_xor_b32_e32 v22, s26, v23
	v_ashrrev_i32_e32 v5, 31, v5
	v_and_b32_e32 v18, v18, v20
	v_and_b32_e32 v20, v6, v22
	v_mul_u32_u24_e32 v17, 5, v14
	v_xor_b32_e32 v22, s25, v5
	v_xor_b32_e32 v5, s24, v5
	ds_write2_b32 v9, v4, v4 offset0:4 offset1:5
	ds_write2_b32 v9, v4, v4 offset0:6 offset1:7
	ds_write_b32 v9, v4 offset:32
	s_waitcnt lgkmcnt(0)
	s_barrier
	s_waitcnt lgkmcnt(0)
	; wave barrier
	s_waitcnt vmcnt(0)
	v_mad_u64_u32 v[6:7], s[26:27], v11, v7, v[2:3]
	v_lshrrev_b32_e32 v23, 6, v6
	v_add_lshl_u32 v11, v23, v17, 2
	v_and_b32_e32 v17, v20, v5
	v_lshlrev_b32_e32 v5, 24, v14
	v_cmp_gt_i64_e64 s[24:25], 0, v[4:5]
	v_not_b32_e32 v5, v5
	v_ashrrev_i32_e32 v5, 31, v5
	v_and_b32_e32 v6, v18, v22
	v_xor_b32_e32 v7, s25, v5
	v_xor_b32_e32 v5, s24, v5
	v_and_b32_e32 v7, v6, v7
	v_and_b32_e32 v6, v17, v5
	v_mbcnt_lo_u32_b32 v5, v6, 0
	v_mbcnt_hi_u32_b32 v14, v7, v5
	v_cmp_eq_u32_e64 s[24:25], 0, v14
	v_cmp_ne_u64_e64 s[26:27], 0, v[6:7]
	s_and_b64 s[26:27], s[26:27], s[24:25]
	s_and_saveexec_b64 s[24:25], s[26:27]
	s_cbranch_execz .LBB12_27
; %bb.26:
	v_bcnt_u32_b32 v5, v6, 0
	v_bcnt_u32_b32 v5, v7, v5
	ds_write_b32 v11, v5 offset:16
.LBB12_27:
	s_or_b64 exec, exec, s[24:25]
	v_cmp_gt_i16_e64 s[24:25], 0, v10
	v_cndmask_b32_e64 v5, v15, 0, s[24:25]
	v_xor_b32_e32 v10, v5, v10
	v_cmp_ne_u16_e64 s[24:25], s28, v10
	v_cndmask_b32_e64 v5, v15, v10, s[24:25]
	v_lshrrev_b32_sdwa v5, s68, v5 dst_sel:DWORD dst_unused:UNUSED_PAD src0_sel:DWORD src1_sel:WORD_0
	v_and_b32_e32 v6, s74, v5
	v_mul_u32_u24_e32 v5, 5, v6
	v_add_lshl_u32 v17, v23, v5, 2
	v_and_b32_e32 v5, 1, v6
	v_add_co_u32_e64 v7, s[24:25], -1, v5
	v_addc_co_u32_e64 v18, s[24:25], 0, -1, s[24:25]
	v_cmp_ne_u32_e64 s[24:25], 0, v5
	v_xor_b32_e32 v5, s25, v18
	v_and_b32_e32 v18, exec_hi, v5
	v_lshlrev_b32_e32 v5, 30, v6
	v_xor_b32_e32 v7, s24, v7
	v_cmp_gt_i64_e64 s[24:25], 0, v[4:5]
	v_not_b32_e32 v5, v5
	v_ashrrev_i32_e32 v5, 31, v5
	v_and_b32_e32 v7, exec_lo, v7
	v_xor_b32_e32 v20, s25, v5
	v_xor_b32_e32 v5, s24, v5
	v_and_b32_e32 v7, v7, v5
	v_lshlrev_b32_e32 v5, 29, v6
	v_cmp_gt_i64_e64 s[24:25], 0, v[4:5]
	v_not_b32_e32 v5, v5
	v_ashrrev_i32_e32 v5, 31, v5
	v_and_b32_e32 v18, v18, v20
	v_xor_b32_e32 v20, s25, v5
	v_xor_b32_e32 v5, s24, v5
	v_and_b32_e32 v7, v7, v5
	v_lshlrev_b32_e32 v5, 28, v6
	v_cmp_gt_i64_e64 s[24:25], 0, v[4:5]
	v_not_b32_e32 v5, v5
	v_ashrrev_i32_e32 v5, 31, v5
	v_and_b32_e32 v18, v18, v20
	;; [unrolled: 8-line block ×5, first 2 shown]
	v_xor_b32_e32 v20, s25, v5
	v_xor_b32_e32 v5, s24, v5
	v_and_b32_e32 v7, v7, v5
	v_lshlrev_b32_e32 v5, 24, v6
	v_cmp_gt_i64_e64 s[24:25], 0, v[4:5]
	v_not_b32_e32 v4, v5
	v_ashrrev_i32_e32 v4, 31, v4
	v_xor_b32_e32 v5, s25, v4
	v_xor_b32_e32 v4, s24, v4
	; wave barrier
	ds_read_b32 v15, v17 offset:16
	v_and_b32_e32 v18, v18, v20
	v_and_b32_e32 v4, v7, v4
	;; [unrolled: 1-line block ×3, first 2 shown]
	v_mbcnt_lo_u32_b32 v6, v4, 0
	v_mbcnt_hi_u32_b32 v18, v5, v6
	v_cmp_eq_u32_e64 s[24:25], 0, v18
	v_cmp_ne_u64_e64 s[26:27], 0, v[4:5]
	s_and_b64 s[26:27], s[26:27], s[24:25]
	; wave barrier
	s_and_saveexec_b64 s[24:25], s[26:27]
	s_cbranch_execz .LBB12_29
; %bb.28:
	v_bcnt_u32_b32 v4, v4, 0
	v_bcnt_u32_b32 v4, v5, v4
	s_waitcnt lgkmcnt(0)
	v_add_u32_e32 v4, v15, v4
	ds_write_b32 v17, v4 offset:16
.LBB12_29:
	s_or_b64 exec, exec, s[24:25]
	v_mov_b32_e32 v26, 0x7fff
	v_cmp_gt_i16_e64 s[24:25], 0, v19
	v_cndmask_b32_e64 v5, v26, 0, s[24:25]
	v_xor_b32_e32 v19, v5, v19
	v_cmp_ne_u16_e64 s[24:25], s28, v19
	v_cndmask_b32_e64 v5, v26, v19, s[24:25]
	v_lshrrev_b32_sdwa v5, s68, v5 dst_sel:DWORD dst_unused:UNUSED_PAD src0_sel:DWORD src1_sel:WORD_0
	v_and_b32_e32 v6, s74, v5
	v_mul_u32_u24_e32 v5, 5, v6
	v_add_lshl_u32 v22, v23, v5, 2
	v_and_b32_e32 v5, 1, v6
	v_add_co_u32_e64 v7, s[24:25], -1, v5
	v_addc_co_u32_e64 v25, s[24:25], 0, -1, s[24:25]
	v_cmp_ne_u32_e64 s[24:25], 0, v5
	v_xor_b32_e32 v5, s25, v25
	v_mov_b32_e32 v4, 0
	v_and_b32_e32 v25, exec_hi, v5
	v_lshlrev_b32_e32 v5, 30, v6
	v_xor_b32_e32 v7, s24, v7
	v_cmp_gt_i64_e64 s[24:25], 0, v[4:5]
	v_not_b32_e32 v5, v5
	v_ashrrev_i32_e32 v5, 31, v5
	v_and_b32_e32 v7, exec_lo, v7
	v_xor_b32_e32 v28, s25, v5
	v_xor_b32_e32 v5, s24, v5
	v_and_b32_e32 v7, v7, v5
	v_lshlrev_b32_e32 v5, 29, v6
	v_cmp_gt_i64_e64 s[24:25], 0, v[4:5]
	v_not_b32_e32 v5, v5
	v_ashrrev_i32_e32 v5, 31, v5
	v_and_b32_e32 v25, v25, v28
	v_xor_b32_e32 v28, s25, v5
	v_xor_b32_e32 v5, s24, v5
	v_and_b32_e32 v7, v7, v5
	v_lshlrev_b32_e32 v5, 28, v6
	v_cmp_gt_i64_e64 s[24:25], 0, v[4:5]
	v_not_b32_e32 v5, v5
	v_ashrrev_i32_e32 v5, 31, v5
	v_and_b32_e32 v25, v25, v28
	v_xor_b32_e32 v28, s25, v5
	v_xor_b32_e32 v5, s24, v5
	v_and_b32_e32 v7, v7, v5
	v_lshlrev_b32_e32 v5, 27, v6
	v_cmp_gt_i64_e64 s[24:25], 0, v[4:5]
	v_not_b32_e32 v5, v5
	v_ashrrev_i32_e32 v5, 31, v5
	v_and_b32_e32 v25, v25, v28
	v_xor_b32_e32 v28, s25, v5
	v_xor_b32_e32 v5, s24, v5
	v_and_b32_e32 v7, v7, v5
	v_lshlrev_b32_e32 v5, 26, v6
	v_cmp_gt_i64_e64 s[24:25], 0, v[4:5]
	v_not_b32_e32 v5, v5
	v_ashrrev_i32_e32 v5, 31, v5
	v_and_b32_e32 v25, v25, v28
	v_xor_b32_e32 v28, s25, v5
	v_xor_b32_e32 v5, s24, v5
	v_and_b32_e32 v7, v7, v5
	v_lshlrev_b32_e32 v5, 25, v6
	v_cmp_gt_i64_e64 s[24:25], 0, v[4:5]
	v_not_b32_e32 v5, v5
	v_ashrrev_i32_e32 v5, 31, v5
	v_and_b32_e32 v25, v25, v28
	v_xor_b32_e32 v28, s25, v5
	v_xor_b32_e32 v5, s24, v5
	v_and_b32_e32 v25, v25, v28
	v_and_b32_e32 v28, v7, v5
	v_lshlrev_b32_e32 v5, 24, v6
	v_cmp_gt_i64_e64 s[24:25], 0, v[4:5]
	v_not_b32_e32 v5, v5
	v_ashrrev_i32_e32 v5, 31, v5
	v_xor_b32_e32 v6, s25, v5
	v_xor_b32_e32 v5, s24, v5
	; wave barrier
	ds_read_b32 v20, v22 offset:16
	v_and_b32_e32 v7, v25, v6
	v_and_b32_e32 v6, v28, v5
	v_mbcnt_lo_u32_b32 v5, v6, 0
	v_mbcnt_hi_u32_b32 v25, v7, v5
	v_cmp_eq_u32_e64 s[24:25], 0, v25
	v_cmp_ne_u64_e64 s[26:27], 0, v[6:7]
	s_and_b64 s[26:27], s[26:27], s[24:25]
	; wave barrier
	s_and_saveexec_b64 s[24:25], s[26:27]
	s_cbranch_execz .LBB12_31
; %bb.30:
	v_bcnt_u32_b32 v5, v6, 0
	v_bcnt_u32_b32 v5, v7, v5
	s_waitcnt lgkmcnt(0)
	v_add_u32_e32 v5, v20, v5
	ds_write_b32 v22, v5 offset:16
.LBB12_31:
	s_or_b64 exec, exec, s[24:25]
	v_cmp_gt_i16_e64 s[24:25], 0, v24
	v_cndmask_b32_e64 v5, v26, 0, s[24:25]
	v_xor_b32_e32 v24, v5, v24
	v_cmp_ne_u16_e64 s[24:25], s28, v24
	v_cndmask_b32_e64 v5, v26, v24, s[24:25]
	v_lshrrev_b32_sdwa v5, s68, v5 dst_sel:DWORD dst_unused:UNUSED_PAD src0_sel:DWORD src1_sel:WORD_0
	v_and_b32_e32 v6, s74, v5
	v_mul_u32_u24_e32 v5, 5, v6
	v_add_lshl_u32 v28, v23, v5, 2
	v_and_b32_e32 v5, 1, v6
	v_add_co_u32_e64 v7, s[24:25], -1, v5
	v_addc_co_u32_e64 v29, s[24:25], 0, -1, s[24:25]
	v_cmp_ne_u32_e64 s[24:25], 0, v5
	v_xor_b32_e32 v5, s25, v29
	v_and_b32_e32 v29, exec_hi, v5
	v_lshlrev_b32_e32 v5, 30, v6
	v_xor_b32_e32 v7, s24, v7
	v_cmp_gt_i64_e64 s[24:25], 0, v[4:5]
	v_not_b32_e32 v5, v5
	v_ashrrev_i32_e32 v5, 31, v5
	v_and_b32_e32 v7, exec_lo, v7
	v_xor_b32_e32 v31, s25, v5
	v_xor_b32_e32 v5, s24, v5
	v_and_b32_e32 v7, v7, v5
	v_lshlrev_b32_e32 v5, 29, v6
	v_cmp_gt_i64_e64 s[24:25], 0, v[4:5]
	v_not_b32_e32 v5, v5
	v_ashrrev_i32_e32 v5, 31, v5
	v_and_b32_e32 v29, v29, v31
	v_xor_b32_e32 v31, s25, v5
	v_xor_b32_e32 v5, s24, v5
	v_and_b32_e32 v7, v7, v5
	v_lshlrev_b32_e32 v5, 28, v6
	v_cmp_gt_i64_e64 s[24:25], 0, v[4:5]
	v_not_b32_e32 v5, v5
	v_ashrrev_i32_e32 v5, 31, v5
	v_and_b32_e32 v29, v29, v31
	;; [unrolled: 8-line block ×5, first 2 shown]
	v_xor_b32_e32 v31, s25, v5
	v_xor_b32_e32 v5, s24, v5
	v_and_b32_e32 v7, v7, v5
	v_lshlrev_b32_e32 v5, 24, v6
	v_cmp_gt_i64_e64 s[24:25], 0, v[4:5]
	v_not_b32_e32 v4, v5
	v_ashrrev_i32_e32 v4, 31, v4
	v_xor_b32_e32 v5, s25, v4
	v_xor_b32_e32 v4, s24, v4
	; wave barrier
	ds_read_b32 v26, v28 offset:16
	v_and_b32_e32 v29, v29, v31
	v_and_b32_e32 v4, v7, v4
	;; [unrolled: 1-line block ×3, first 2 shown]
	v_mbcnt_lo_u32_b32 v6, v4, 0
	v_mbcnt_hi_u32_b32 v29, v5, v6
	v_cmp_eq_u32_e64 s[24:25], 0, v29
	v_cmp_ne_u64_e64 s[26:27], 0, v[4:5]
	s_and_b64 s[26:27], s[26:27], s[24:25]
	; wave barrier
	s_and_saveexec_b64 s[24:25], s[26:27]
	s_cbranch_execz .LBB12_33
; %bb.32:
	v_bcnt_u32_b32 v4, v4, 0
	v_bcnt_u32_b32 v4, v5, v4
	s_waitcnt lgkmcnt(0)
	v_add_u32_e32 v4, v26, v4
	ds_write_b32 v28, v4 offset:16
.LBB12_33:
	s_or_b64 exec, exec, s[24:25]
	v_mov_b32_e32 v37, 0x7fff
	v_cmp_gt_i16_e64 s[24:25], 0, v30
	v_cndmask_b32_e64 v5, v37, 0, s[24:25]
	v_xor_b32_e32 v30, v5, v30
	v_cmp_ne_u16_e64 s[24:25], s28, v30
	v_cndmask_b32_e64 v5, v37, v30, s[24:25]
	v_lshrrev_b32_sdwa v5, s68, v5 dst_sel:DWORD dst_unused:UNUSED_PAD src0_sel:DWORD src1_sel:WORD_0
	v_and_b32_e32 v6, s74, v5
	v_mul_u32_u24_e32 v5, 5, v6
	v_add_lshl_u32 v33, v23, v5, 2
	v_and_b32_e32 v5, 1, v6
	v_add_co_u32_e64 v7, s[24:25], -1, v5
	v_addc_co_u32_e64 v34, s[24:25], 0, -1, s[24:25]
	v_cmp_ne_u32_e64 s[24:25], 0, v5
	v_xor_b32_e32 v5, s25, v34
	v_mov_b32_e32 v4, 0
	v_and_b32_e32 v34, exec_hi, v5
	v_lshlrev_b32_e32 v5, 30, v6
	v_xor_b32_e32 v7, s24, v7
	v_cmp_gt_i64_e64 s[24:25], 0, v[4:5]
	v_not_b32_e32 v5, v5
	v_ashrrev_i32_e32 v5, 31, v5
	v_and_b32_e32 v7, exec_lo, v7
	v_xor_b32_e32 v38, s25, v5
	v_xor_b32_e32 v5, s24, v5
	v_and_b32_e32 v7, v7, v5
	v_lshlrev_b32_e32 v5, 29, v6
	v_cmp_gt_i64_e64 s[24:25], 0, v[4:5]
	v_not_b32_e32 v5, v5
	v_ashrrev_i32_e32 v5, 31, v5
	v_and_b32_e32 v34, v34, v38
	v_xor_b32_e32 v38, s25, v5
	v_xor_b32_e32 v5, s24, v5
	v_and_b32_e32 v7, v7, v5
	v_lshlrev_b32_e32 v5, 28, v6
	v_cmp_gt_i64_e64 s[24:25], 0, v[4:5]
	v_not_b32_e32 v5, v5
	v_ashrrev_i32_e32 v5, 31, v5
	v_and_b32_e32 v34, v34, v38
	;; [unrolled: 8-line block ×5, first 2 shown]
	v_xor_b32_e32 v38, s25, v5
	v_xor_b32_e32 v5, s24, v5
	v_and_b32_e32 v34, v34, v38
	v_and_b32_e32 v38, v7, v5
	v_lshlrev_b32_e32 v5, 24, v6
	v_cmp_gt_i64_e64 s[24:25], 0, v[4:5]
	v_not_b32_e32 v5, v5
	v_ashrrev_i32_e32 v5, 31, v5
	v_xor_b32_e32 v6, s25, v5
	v_xor_b32_e32 v5, s24, v5
	; wave barrier
	ds_read_b32 v31, v33 offset:16
	v_and_b32_e32 v7, v34, v6
	v_and_b32_e32 v6, v38, v5
	v_mbcnt_lo_u32_b32 v5, v6, 0
	v_mbcnt_hi_u32_b32 v34, v7, v5
	v_cmp_eq_u32_e64 s[24:25], 0, v34
	v_cmp_ne_u64_e64 s[26:27], 0, v[6:7]
	s_and_b64 s[26:27], s[26:27], s[24:25]
	; wave barrier
	s_and_saveexec_b64 s[24:25], s[26:27]
	s_cbranch_execz .LBB12_35
; %bb.34:
	v_bcnt_u32_b32 v5, v6, 0
	v_bcnt_u32_b32 v5, v7, v5
	s_waitcnt lgkmcnt(0)
	v_add_u32_e32 v5, v31, v5
	ds_write_b32 v33, v5 offset:16
.LBB12_35:
	s_or_b64 exec, exec, s[24:25]
	v_cmp_gt_i16_e64 s[24:25], 0, v36
	v_cndmask_b32_e64 v5, v37, 0, s[24:25]
	v_xor_b32_e32 v46, v5, v36
	v_cmp_ne_u16_e64 s[24:25], s28, v46
	v_cndmask_b32_e64 v5, v37, v46, s[24:25]
	v_lshrrev_b32_sdwa v5, s68, v5 dst_sel:DWORD dst_unused:UNUSED_PAD src0_sel:DWORD src1_sel:WORD_0
	v_and_b32_e32 v6, s74, v5
	v_mul_u32_u24_e32 v5, 5, v6
	v_add_lshl_u32 v37, v23, v5, 2
	v_and_b32_e32 v5, 1, v6
	v_add_co_u32_e64 v7, s[24:25], -1, v5
	v_addc_co_u32_e64 v38, s[24:25], 0, -1, s[24:25]
	v_cmp_ne_u32_e64 s[24:25], 0, v5
	v_xor_b32_e32 v5, s25, v38
	v_and_b32_e32 v38, exec_hi, v5
	v_lshlrev_b32_e32 v5, 30, v6
	v_xor_b32_e32 v7, s24, v7
	v_cmp_gt_i64_e64 s[24:25], 0, v[4:5]
	v_not_b32_e32 v5, v5
	v_ashrrev_i32_e32 v5, 31, v5
	v_and_b32_e32 v7, exec_lo, v7
	v_xor_b32_e32 v40, s25, v5
	v_xor_b32_e32 v5, s24, v5
	v_and_b32_e32 v7, v7, v5
	v_lshlrev_b32_e32 v5, 29, v6
	v_cmp_gt_i64_e64 s[24:25], 0, v[4:5]
	v_not_b32_e32 v5, v5
	v_ashrrev_i32_e32 v5, 31, v5
	v_and_b32_e32 v38, v38, v40
	v_xor_b32_e32 v40, s25, v5
	v_xor_b32_e32 v5, s24, v5
	v_and_b32_e32 v7, v7, v5
	v_lshlrev_b32_e32 v5, 28, v6
	v_cmp_gt_i64_e64 s[24:25], 0, v[4:5]
	v_not_b32_e32 v5, v5
	v_ashrrev_i32_e32 v5, 31, v5
	v_and_b32_e32 v38, v38, v40
	v_xor_b32_e32 v40, s25, v5
	v_xor_b32_e32 v5, s24, v5
	v_and_b32_e32 v7, v7, v5
	v_lshlrev_b32_e32 v5, 27, v6
	v_cmp_gt_i64_e64 s[24:25], 0, v[4:5]
	v_not_b32_e32 v5, v5
	v_ashrrev_i32_e32 v5, 31, v5
	v_and_b32_e32 v38, v38, v40
	v_xor_b32_e32 v40, s25, v5
	v_xor_b32_e32 v5, s24, v5
	v_and_b32_e32 v7, v7, v5
	v_lshlrev_b32_e32 v5, 26, v6
	v_cmp_gt_i64_e64 s[24:25], 0, v[4:5]
	v_not_b32_e32 v5, v5
	v_ashrrev_i32_e32 v5, 31, v5
	v_and_b32_e32 v38, v38, v40
	v_xor_b32_e32 v40, s25, v5
	v_xor_b32_e32 v5, s24, v5
	v_and_b32_e32 v7, v7, v5
	v_lshlrev_b32_e32 v5, 25, v6
	v_cmp_gt_i64_e64 s[24:25], 0, v[4:5]
	v_not_b32_e32 v5, v5
	v_ashrrev_i32_e32 v5, 31, v5
	v_and_b32_e32 v38, v38, v40
	v_xor_b32_e32 v40, s25, v5
	v_xor_b32_e32 v5, s24, v5
	v_and_b32_e32 v7, v7, v5
	v_lshlrev_b32_e32 v5, 24, v6
	v_cmp_gt_i64_e64 s[24:25], 0, v[4:5]
	v_not_b32_e32 v4, v5
	v_ashrrev_i32_e32 v4, 31, v4
	v_xor_b32_e32 v5, s25, v4
	v_xor_b32_e32 v4, s24, v4
	; wave barrier
	ds_read_b32 v36, v37 offset:16
	v_and_b32_e32 v38, v38, v40
	v_and_b32_e32 v4, v7, v4
	;; [unrolled: 1-line block ×3, first 2 shown]
	v_mbcnt_lo_u32_b32 v6, v4, 0
	v_mbcnt_hi_u32_b32 v38, v5, v6
	v_cmp_eq_u32_e64 s[24:25], 0, v38
	v_cmp_ne_u64_e64 s[26:27], 0, v[4:5]
	s_and_b64 s[26:27], s[26:27], s[24:25]
	; wave barrier
	s_and_saveexec_b64 s[24:25], s[26:27]
	s_cbranch_execz .LBB12_37
; %bb.36:
	v_bcnt_u32_b32 v4, v4, 0
	v_bcnt_u32_b32 v4, v5, v4
	s_waitcnt lgkmcnt(0)
	v_add_u32_e32 v4, v36, v4
	ds_write_b32 v37, v4 offset:16
.LBB12_37:
	s_or_b64 exec, exec, s[24:25]
	v_mov_b32_e32 v41, 0x7fff
	v_cmp_gt_i16_e64 s[24:25], 0, v39
	v_cndmask_b32_e64 v5, v41, 0, s[24:25]
	v_xor_b32_e32 v47, v5, v39
	v_cmp_ne_u16_e64 s[24:25], s28, v47
	v_cndmask_b32_e64 v5, v41, v47, s[24:25]
	v_lshrrev_b32_sdwa v5, s68, v5 dst_sel:DWORD dst_unused:UNUSED_PAD src0_sel:DWORD src1_sel:WORD_0
	v_and_b32_e32 v6, s74, v5
	v_mul_u32_u24_e32 v5, 5, v6
	v_add_lshl_u32 v40, v23, v5, 2
	v_and_b32_e32 v5, 1, v6
	v_add_co_u32_e64 v7, s[24:25], -1, v5
	v_addc_co_u32_e64 v42, s[24:25], 0, -1, s[24:25]
	v_cmp_ne_u32_e64 s[24:25], 0, v5
	v_xor_b32_e32 v5, s25, v42
	v_mov_b32_e32 v4, 0
	v_and_b32_e32 v42, exec_hi, v5
	v_lshlrev_b32_e32 v5, 30, v6
	v_xor_b32_e32 v7, s24, v7
	v_cmp_gt_i64_e64 s[24:25], 0, v[4:5]
	v_not_b32_e32 v5, v5
	v_ashrrev_i32_e32 v5, 31, v5
	v_and_b32_e32 v7, exec_lo, v7
	v_xor_b32_e32 v43, s25, v5
	v_xor_b32_e32 v5, s24, v5
	v_and_b32_e32 v7, v7, v5
	v_lshlrev_b32_e32 v5, 29, v6
	v_cmp_gt_i64_e64 s[24:25], 0, v[4:5]
	v_not_b32_e32 v5, v5
	v_ashrrev_i32_e32 v5, 31, v5
	v_and_b32_e32 v42, v42, v43
	v_xor_b32_e32 v43, s25, v5
	v_xor_b32_e32 v5, s24, v5
	v_and_b32_e32 v7, v7, v5
	v_lshlrev_b32_e32 v5, 28, v6
	v_cmp_gt_i64_e64 s[24:25], 0, v[4:5]
	v_not_b32_e32 v5, v5
	v_ashrrev_i32_e32 v5, 31, v5
	v_and_b32_e32 v42, v42, v43
	;; [unrolled: 8-line block ×5, first 2 shown]
	v_xor_b32_e32 v43, s25, v5
	v_xor_b32_e32 v5, s24, v5
	v_and_b32_e32 v42, v42, v43
	v_and_b32_e32 v43, v7, v5
	v_lshlrev_b32_e32 v5, 24, v6
	v_cmp_gt_i64_e64 s[24:25], 0, v[4:5]
	v_not_b32_e32 v5, v5
	v_ashrrev_i32_e32 v5, 31, v5
	v_xor_b32_e32 v6, s25, v5
	v_xor_b32_e32 v5, s24, v5
	; wave barrier
	ds_read_b32 v39, v40 offset:16
	v_and_b32_e32 v7, v42, v6
	v_and_b32_e32 v6, v43, v5
	v_mbcnt_lo_u32_b32 v5, v6, 0
	v_mbcnt_hi_u32_b32 v49, v7, v5
	v_cmp_eq_u32_e64 s[24:25], 0, v49
	v_cmp_ne_u64_e64 s[26:27], 0, v[6:7]
	s_and_b64 s[26:27], s[26:27], s[24:25]
	; wave barrier
	s_and_saveexec_b64 s[24:25], s[26:27]
	s_cbranch_execz .LBB12_39
; %bb.38:
	v_bcnt_u32_b32 v5, v6, 0
	v_bcnt_u32_b32 v5, v7, v5
	s_waitcnt lgkmcnt(0)
	v_add_u32_e32 v5, v39, v5
	ds_write_b32 v40, v5 offset:16
.LBB12_39:
	s_or_b64 exec, exec, s[24:25]
	v_cmp_gt_i16_e64 s[24:25], 0, v35
	v_cndmask_b32_e64 v5, v41, 0, s[24:25]
	v_xor_b32_e32 v48, v5, v35
	v_cmp_ne_u16_e64 s[24:25], s28, v48
	v_cndmask_b32_e64 v5, v41, v48, s[24:25]
	v_lshrrev_b32_sdwa v5, s68, v5 dst_sel:DWORD dst_unused:UNUSED_PAD src0_sel:DWORD src1_sel:WORD_0
	v_and_b32_e32 v6, s74, v5
	v_mul_u32_u24_e32 v5, 5, v6
	v_add_lshl_u32 v41, v23, v5, 2
	v_and_b32_e32 v5, 1, v6
	v_add_co_u32_e64 v7, s[24:25], -1, v5
	v_addc_co_u32_e64 v42, s[24:25], 0, -1, s[24:25]
	v_cmp_ne_u32_e64 s[24:25], 0, v5
	v_xor_b32_e32 v5, s25, v42
	v_and_b32_e32 v42, exec_hi, v5
	v_lshlrev_b32_e32 v5, 30, v6
	v_xor_b32_e32 v7, s24, v7
	v_cmp_gt_i64_e64 s[24:25], 0, v[4:5]
	v_not_b32_e32 v5, v5
	v_ashrrev_i32_e32 v5, 31, v5
	v_and_b32_e32 v7, exec_lo, v7
	v_xor_b32_e32 v43, s25, v5
	v_xor_b32_e32 v5, s24, v5
	v_and_b32_e32 v7, v7, v5
	v_lshlrev_b32_e32 v5, 29, v6
	v_cmp_gt_i64_e64 s[24:25], 0, v[4:5]
	v_not_b32_e32 v5, v5
	v_ashrrev_i32_e32 v5, 31, v5
	v_and_b32_e32 v42, v42, v43
	v_xor_b32_e32 v43, s25, v5
	v_xor_b32_e32 v5, s24, v5
	v_and_b32_e32 v7, v7, v5
	v_lshlrev_b32_e32 v5, 28, v6
	v_cmp_gt_i64_e64 s[24:25], 0, v[4:5]
	v_not_b32_e32 v5, v5
	v_ashrrev_i32_e32 v5, 31, v5
	v_and_b32_e32 v42, v42, v43
	;; [unrolled: 8-line block ×5, first 2 shown]
	v_xor_b32_e32 v43, s25, v5
	v_xor_b32_e32 v5, s24, v5
	v_and_b32_e32 v7, v7, v5
	v_lshlrev_b32_e32 v5, 24, v6
	v_cmp_gt_i64_e64 s[24:25], 0, v[4:5]
	v_not_b32_e32 v4, v5
	v_ashrrev_i32_e32 v4, 31, v4
	v_xor_b32_e32 v5, s25, v4
	v_xor_b32_e32 v4, s24, v4
	; wave barrier
	ds_read_b32 v35, v41 offset:16
	v_and_b32_e32 v42, v42, v43
	v_and_b32_e32 v4, v7, v4
	;; [unrolled: 1-line block ×3, first 2 shown]
	v_mbcnt_lo_u32_b32 v6, v4, 0
	v_mbcnt_hi_u32_b32 v50, v5, v6
	v_cmp_eq_u32_e64 s[24:25], 0, v50
	v_cmp_ne_u64_e64 s[26:27], 0, v[4:5]
	s_and_b64 s[26:27], s[26:27], s[24:25]
	; wave barrier
	s_and_saveexec_b64 s[24:25], s[26:27]
	s_cbranch_execz .LBB12_41
; %bb.40:
	v_bcnt_u32_b32 v4, v4, 0
	v_bcnt_u32_b32 v4, v5, v4
	s_waitcnt lgkmcnt(0)
	v_add_u32_e32 v4, v35, v4
	ds_write_b32 v41, v4 offset:16
.LBB12_41:
	s_or_b64 exec, exec, s[24:25]
	v_mov_b32_e32 v43, 0x7fff
	v_cmp_gt_i16_e64 s[24:25], 0, v32
	v_cndmask_b32_e64 v5, v43, 0, s[24:25]
	v_xor_b32_e32 v32, v5, v32
	v_cmp_ne_u16_e64 s[24:25], s28, v32
	v_cndmask_b32_e64 v5, v43, v32, s[24:25]
	v_lshrrev_b32_sdwa v5, s68, v5 dst_sel:DWORD dst_unused:UNUSED_PAD src0_sel:DWORD src1_sel:WORD_0
	v_and_b32_e32 v6, s74, v5
	v_mul_u32_u24_e32 v5, 5, v6
	v_add_lshl_u32 v42, v23, v5, 2
	v_and_b32_e32 v5, 1, v6
	v_add_co_u32_e64 v7, s[24:25], -1, v5
	v_addc_co_u32_e64 v44, s[24:25], 0, -1, s[24:25]
	v_cmp_ne_u32_e64 s[24:25], 0, v5
	v_xor_b32_e32 v5, s25, v44
	v_mov_b32_e32 v4, 0
	v_and_b32_e32 v44, exec_hi, v5
	v_lshlrev_b32_e32 v5, 30, v6
	v_xor_b32_e32 v7, s24, v7
	v_cmp_gt_i64_e64 s[24:25], 0, v[4:5]
	v_not_b32_e32 v5, v5
	v_ashrrev_i32_e32 v5, 31, v5
	v_and_b32_e32 v7, exec_lo, v7
	v_xor_b32_e32 v45, s25, v5
	v_xor_b32_e32 v5, s24, v5
	v_and_b32_e32 v7, v7, v5
	v_lshlrev_b32_e32 v5, 29, v6
	v_cmp_gt_i64_e64 s[24:25], 0, v[4:5]
	v_not_b32_e32 v5, v5
	v_ashrrev_i32_e32 v5, 31, v5
	v_and_b32_e32 v44, v44, v45
	v_xor_b32_e32 v45, s25, v5
	v_xor_b32_e32 v5, s24, v5
	v_and_b32_e32 v7, v7, v5
	v_lshlrev_b32_e32 v5, 28, v6
	v_cmp_gt_i64_e64 s[24:25], 0, v[4:5]
	v_not_b32_e32 v5, v5
	v_ashrrev_i32_e32 v5, 31, v5
	v_and_b32_e32 v44, v44, v45
	;; [unrolled: 8-line block ×5, first 2 shown]
	v_xor_b32_e32 v45, s25, v5
	v_xor_b32_e32 v5, s24, v5
	v_and_b32_e32 v44, v44, v45
	v_and_b32_e32 v45, v7, v5
	v_lshlrev_b32_e32 v5, 24, v6
	v_cmp_gt_i64_e64 s[24:25], 0, v[4:5]
	v_not_b32_e32 v5, v5
	v_ashrrev_i32_e32 v5, 31, v5
	v_xor_b32_e32 v6, s25, v5
	v_xor_b32_e32 v5, s24, v5
	; wave barrier
	ds_read_b32 v51, v42 offset:16
	v_and_b32_e32 v7, v44, v6
	v_and_b32_e32 v6, v45, v5
	v_mbcnt_lo_u32_b32 v5, v6, 0
	v_mbcnt_hi_u32_b32 v52, v7, v5
	v_cmp_eq_u32_e64 s[24:25], 0, v52
	v_cmp_ne_u64_e64 s[26:27], 0, v[6:7]
	s_and_b64 s[26:27], s[26:27], s[24:25]
	; wave barrier
	s_and_saveexec_b64 s[24:25], s[26:27]
	s_cbranch_execz .LBB12_43
; %bb.42:
	v_bcnt_u32_b32 v5, v6, 0
	v_bcnt_u32_b32 v5, v7, v5
	s_waitcnt lgkmcnt(0)
	v_add_u32_e32 v5, v51, v5
	ds_write_b32 v42, v5 offset:16
.LBB12_43:
	s_or_b64 exec, exec, s[24:25]
	v_cmp_gt_i16_e64 s[24:25], 0, v27
	v_cndmask_b32_e64 v5, v43, 0, s[24:25]
	v_xor_b32_e32 v27, v5, v27
	v_cmp_ne_u16_e64 s[24:25], s28, v27
	v_cndmask_b32_e64 v5, v43, v27, s[24:25]
	v_lshrrev_b32_sdwa v5, s68, v5 dst_sel:DWORD dst_unused:UNUSED_PAD src0_sel:DWORD src1_sel:WORD_0
	v_and_b32_e32 v6, s74, v5
	v_mul_u32_u24_e32 v5, 5, v6
	v_add_lshl_u32 v43, v23, v5, 2
	v_and_b32_e32 v5, 1, v6
	v_add_co_u32_e64 v7, s[24:25], -1, v5
	v_addc_co_u32_e64 v44, s[24:25], 0, -1, s[24:25]
	v_cmp_ne_u32_e64 s[24:25], 0, v5
	v_xor_b32_e32 v5, s25, v44
	v_and_b32_e32 v44, exec_hi, v5
	v_lshlrev_b32_e32 v5, 30, v6
	v_xor_b32_e32 v7, s24, v7
	v_cmp_gt_i64_e64 s[24:25], 0, v[4:5]
	v_not_b32_e32 v5, v5
	v_ashrrev_i32_e32 v5, 31, v5
	v_and_b32_e32 v7, exec_lo, v7
	v_xor_b32_e32 v45, s25, v5
	v_xor_b32_e32 v5, s24, v5
	v_and_b32_e32 v7, v7, v5
	v_lshlrev_b32_e32 v5, 29, v6
	v_cmp_gt_i64_e64 s[24:25], 0, v[4:5]
	v_not_b32_e32 v5, v5
	v_ashrrev_i32_e32 v5, 31, v5
	v_and_b32_e32 v44, v44, v45
	v_xor_b32_e32 v45, s25, v5
	v_xor_b32_e32 v5, s24, v5
	v_and_b32_e32 v7, v7, v5
	v_lshlrev_b32_e32 v5, 28, v6
	v_cmp_gt_i64_e64 s[24:25], 0, v[4:5]
	v_not_b32_e32 v5, v5
	v_ashrrev_i32_e32 v5, 31, v5
	v_and_b32_e32 v44, v44, v45
	;; [unrolled: 8-line block ×5, first 2 shown]
	v_xor_b32_e32 v45, s25, v5
	v_xor_b32_e32 v5, s24, v5
	v_and_b32_e32 v7, v7, v5
	v_lshlrev_b32_e32 v5, 24, v6
	v_cmp_gt_i64_e64 s[24:25], 0, v[4:5]
	v_not_b32_e32 v4, v5
	v_ashrrev_i32_e32 v4, 31, v4
	v_xor_b32_e32 v5, s25, v4
	v_xor_b32_e32 v4, s24, v4
	; wave barrier
	ds_read_b32 v53, v43 offset:16
	v_and_b32_e32 v44, v44, v45
	v_and_b32_e32 v4, v7, v4
	;; [unrolled: 1-line block ×3, first 2 shown]
	v_mbcnt_lo_u32_b32 v6, v4, 0
	v_mbcnt_hi_u32_b32 v54, v5, v6
	v_cmp_eq_u32_e64 s[24:25], 0, v54
	v_cmp_ne_u64_e64 s[26:27], 0, v[4:5]
	s_and_b64 s[26:27], s[26:27], s[24:25]
	; wave barrier
	s_and_saveexec_b64 s[24:25], s[26:27]
	s_cbranch_execz .LBB12_45
; %bb.44:
	v_bcnt_u32_b32 v4, v4, 0
	v_bcnt_u32_b32 v4, v5, v4
	s_waitcnt lgkmcnt(0)
	v_add_u32_e32 v4, v53, v4
	ds_write_b32 v43, v4 offset:16
.LBB12_45:
	s_or_b64 exec, exec, s[24:25]
	v_mov_b32_e32 v45, 0x7fff
	v_cmp_gt_i16_e64 s[24:25], 0, v21
	v_cndmask_b32_e64 v5, v45, 0, s[24:25]
	v_xor_b32_e32 v21, v5, v21
	v_cmp_ne_u16_e64 s[24:25], s28, v21
	v_cndmask_b32_e64 v5, v45, v21, s[24:25]
	v_lshrrev_b32_sdwa v5, s68, v5 dst_sel:DWORD dst_unused:UNUSED_PAD src0_sel:DWORD src1_sel:WORD_0
	v_and_b32_e32 v6, s74, v5
	v_mul_u32_u24_e32 v5, 5, v6
	v_add_lshl_u32 v44, v23, v5, 2
	v_and_b32_e32 v5, 1, v6
	v_add_co_u32_e64 v7, s[24:25], -1, v5
	v_addc_co_u32_e64 v56, s[24:25], 0, -1, s[24:25]
	v_cmp_ne_u32_e64 s[24:25], 0, v5
	v_xor_b32_e32 v5, s25, v56
	v_mov_b32_e32 v4, 0
	v_and_b32_e32 v56, exec_hi, v5
	v_lshlrev_b32_e32 v5, 30, v6
	v_xor_b32_e32 v7, s24, v7
	v_cmp_gt_i64_e64 s[24:25], 0, v[4:5]
	v_not_b32_e32 v5, v5
	v_ashrrev_i32_e32 v5, 31, v5
	v_and_b32_e32 v7, exec_lo, v7
	v_xor_b32_e32 v57, s25, v5
	v_xor_b32_e32 v5, s24, v5
	v_and_b32_e32 v7, v7, v5
	v_lshlrev_b32_e32 v5, 29, v6
	v_cmp_gt_i64_e64 s[24:25], 0, v[4:5]
	v_not_b32_e32 v5, v5
	v_ashrrev_i32_e32 v5, 31, v5
	v_and_b32_e32 v56, v56, v57
	v_xor_b32_e32 v57, s25, v5
	v_xor_b32_e32 v5, s24, v5
	v_and_b32_e32 v7, v7, v5
	v_lshlrev_b32_e32 v5, 28, v6
	v_cmp_gt_i64_e64 s[24:25], 0, v[4:5]
	v_not_b32_e32 v5, v5
	v_ashrrev_i32_e32 v5, 31, v5
	v_and_b32_e32 v56, v56, v57
	;; [unrolled: 8-line block ×5, first 2 shown]
	v_xor_b32_e32 v57, s25, v5
	v_xor_b32_e32 v5, s24, v5
	v_and_b32_e32 v56, v56, v57
	v_and_b32_e32 v57, v7, v5
	v_lshlrev_b32_e32 v5, 24, v6
	v_cmp_gt_i64_e64 s[24:25], 0, v[4:5]
	v_not_b32_e32 v5, v5
	v_ashrrev_i32_e32 v5, 31, v5
	v_xor_b32_e32 v6, s25, v5
	v_xor_b32_e32 v5, s24, v5
	; wave barrier
	ds_read_b32 v55, v44 offset:16
	v_and_b32_e32 v7, v56, v6
	v_and_b32_e32 v6, v57, v5
	v_mbcnt_lo_u32_b32 v5, v6, 0
	v_mbcnt_hi_u32_b32 v56, v7, v5
	v_cmp_eq_u32_e64 s[24:25], 0, v56
	v_cmp_ne_u64_e64 s[26:27], 0, v[6:7]
	s_and_b64 s[26:27], s[26:27], s[24:25]
	; wave barrier
	s_and_saveexec_b64 s[24:25], s[26:27]
	s_cbranch_execz .LBB12_47
; %bb.46:
	v_bcnt_u32_b32 v5, v6, 0
	v_bcnt_u32_b32 v5, v7, v5
	s_waitcnt lgkmcnt(0)
	v_add_u32_e32 v5, v55, v5
	ds_write_b32 v44, v5 offset:16
.LBB12_47:
	s_or_b64 exec, exec, s[24:25]
	v_cmp_gt_i16_e64 s[24:25], 0, v16
	v_cndmask_b32_e64 v5, v45, 0, s[24:25]
	v_xor_b32_e32 v16, v5, v16
	v_cmp_ne_u16_e64 s[24:25], s28, v16
	v_cndmask_b32_e64 v5, v45, v16, s[24:25]
	v_lshrrev_b32_sdwa v5, s68, v5 dst_sel:DWORD dst_unused:UNUSED_PAD src0_sel:DWORD src1_sel:WORD_0
	v_and_b32_e32 v6, s74, v5
	v_mul_u32_u24_e32 v5, 5, v6
	v_add_lshl_u32 v45, v5, v23, 2
	v_and_b32_e32 v5, 1, v6
	v_add_co_u32_e64 v7, s[24:25], -1, v5
	v_addc_co_u32_e64 v58, s[24:25], 0, -1, s[24:25]
	v_cmp_ne_u32_e64 s[24:25], 0, v5
	v_xor_b32_e32 v5, s25, v58
	v_and_b32_e32 v58, exec_hi, v5
	v_lshlrev_b32_e32 v5, 30, v6
	v_xor_b32_e32 v7, s24, v7
	v_cmp_gt_i64_e64 s[24:25], 0, v[4:5]
	v_not_b32_e32 v5, v5
	v_ashrrev_i32_e32 v5, 31, v5
	v_and_b32_e32 v7, exec_lo, v7
	v_xor_b32_e32 v59, s25, v5
	v_xor_b32_e32 v5, s24, v5
	v_and_b32_e32 v7, v7, v5
	v_lshlrev_b32_e32 v5, 29, v6
	v_cmp_gt_i64_e64 s[24:25], 0, v[4:5]
	v_not_b32_e32 v5, v5
	v_ashrrev_i32_e32 v5, 31, v5
	v_and_b32_e32 v58, v58, v59
	v_xor_b32_e32 v59, s25, v5
	v_xor_b32_e32 v5, s24, v5
	v_and_b32_e32 v7, v7, v5
	v_lshlrev_b32_e32 v5, 28, v6
	v_cmp_gt_i64_e64 s[24:25], 0, v[4:5]
	v_not_b32_e32 v5, v5
	v_ashrrev_i32_e32 v5, 31, v5
	v_and_b32_e32 v58, v58, v59
	;; [unrolled: 8-line block ×5, first 2 shown]
	v_xor_b32_e32 v59, s25, v5
	v_xor_b32_e32 v5, s24, v5
	v_and_b32_e32 v7, v7, v5
	v_lshlrev_b32_e32 v5, 24, v6
	v_cmp_gt_i64_e64 s[24:25], 0, v[4:5]
	v_not_b32_e32 v4, v5
	v_ashrrev_i32_e32 v4, 31, v4
	v_xor_b32_e32 v5, s25, v4
	v_xor_b32_e32 v4, s24, v4
	; wave barrier
	ds_read_b32 v23, v45 offset:16
	v_and_b32_e32 v58, v58, v59
	v_and_b32_e32 v4, v7, v4
	;; [unrolled: 1-line block ×3, first 2 shown]
	v_mbcnt_lo_u32_b32 v6, v4, 0
	v_mbcnt_hi_u32_b32 v58, v5, v6
	v_cmp_eq_u32_e64 s[24:25], 0, v58
	v_cmp_ne_u64_e64 s[26:27], 0, v[4:5]
	v_add_u32_e32 v57, 16, v9
	s_and_b64 s[26:27], s[26:27], s[24:25]
	; wave barrier
	s_and_saveexec_b64 s[24:25], s[26:27]
	s_cbranch_execz .LBB12_49
; %bb.48:
	v_bcnt_u32_b32 v4, v4, 0
	v_bcnt_u32_b32 v4, v5, v4
	s_waitcnt lgkmcnt(0)
	v_add_u32_e32 v4, v23, v4
	ds_write_b32 v45, v4 offset:16
.LBB12_49:
	s_or_b64 exec, exec, s[24:25]
	; wave barrier
	s_waitcnt lgkmcnt(0)
	s_barrier
	ds_read2_b32 v[6:7], v9 offset0:4 offset1:5
	ds_read2_b32 v[4:5], v57 offset0:2 offset1:3
	ds_read_b32 v59, v57 offset:16
	v_min_u32_e32 v3, 0xc0, v3
	v_or_b32_e32 v3, 63, v3
	s_waitcnt lgkmcnt(1)
	v_add3_u32 v60, v7, v6, v4
	s_waitcnt lgkmcnt(0)
	v_add3_u32 v59, v60, v5, v59
	v_and_b32_e32 v60, 15, v13
	v_cmp_ne_u32_e64 s[24:25], 0, v60
	v_mov_b32_dpp v61, v59 row_shr:1 row_mask:0xf bank_mask:0xf
	v_cndmask_b32_e64 v61, 0, v61, s[24:25]
	v_add_u32_e32 v59, v61, v59
	v_cmp_lt_u32_e64 s[24:25], 1, v60
	s_nop 0
	v_mov_b32_dpp v61, v59 row_shr:2 row_mask:0xf bank_mask:0xf
	v_cndmask_b32_e64 v61, 0, v61, s[24:25]
	v_add_u32_e32 v59, v59, v61
	v_cmp_lt_u32_e64 s[24:25], 3, v60
	s_nop 0
	;; [unrolled: 5-line block ×3, first 2 shown]
	v_mov_b32_dpp v61, v59 row_shr:8 row_mask:0xf bank_mask:0xf
	v_cndmask_b32_e64 v60, 0, v61, s[24:25]
	v_add_u32_e32 v59, v59, v60
	v_bfe_i32 v61, v13, 4, 1
	v_cmp_lt_u32_e64 s[24:25], 31, v13
	v_mov_b32_dpp v60, v59 row_bcast:15 row_mask:0xf bank_mask:0xf
	v_and_b32_e32 v60, v61, v60
	v_add_u32_e32 v59, v59, v60
	s_nop 1
	v_mov_b32_dpp v60, v59 row_bcast:31 row_mask:0xf bank_mask:0xf
	v_cndmask_b32_e64 v60, 0, v60, s[24:25]
	v_add_u32_e32 v59, v59, v60
	v_lshrrev_b32_e32 v60, 6, v2
	v_cmp_eq_u32_e64 s[24:25], v3, v2
	s_and_saveexec_b64 s[26:27], s[24:25]
	s_cbranch_execz .LBB12_51
; %bb.50:
	v_lshlrev_b32_e32 v3, 2, v60
	ds_write_b32 v3, v59
.LBB12_51:
	s_or_b64 exec, exec, s[26:27]
	v_cmp_gt_u32_e64 s[24:25], 4, v2
	s_waitcnt lgkmcnt(0)
	s_barrier
	s_and_saveexec_b64 s[26:27], s[24:25]
	s_cbranch_execz .LBB12_53
; %bb.52:
	v_lshlrev_b32_e32 v3, 2, v2
	ds_read_b32 v61, v3
	v_and_b32_e32 v62, 3, v13
	v_cmp_ne_u32_e64 s[24:25], 0, v62
	s_waitcnt lgkmcnt(0)
	v_mov_b32_dpp v63, v61 row_shr:1 row_mask:0xf bank_mask:0xf
	v_cndmask_b32_e64 v63, 0, v63, s[24:25]
	v_add_u32_e32 v61, v63, v61
	v_cmp_lt_u32_e64 s[24:25], 1, v62
	s_nop 0
	v_mov_b32_dpp v63, v61 row_shr:2 row_mask:0xf bank_mask:0xf
	v_cndmask_b32_e64 v62, 0, v63, s[24:25]
	v_add_u32_e32 v61, v61, v62
	ds_write_b32 v3, v61
.LBB12_53:
	s_or_b64 exec, exec, s[26:27]
	v_cmp_lt_u32_e64 s[24:25], 63, v2
	v_mov_b32_e32 v3, 0
	s_waitcnt lgkmcnt(0)
	s_barrier
	s_and_saveexec_b64 s[26:27], s[24:25]
	s_cbranch_execz .LBB12_55
; %bb.54:
	v_lshl_add_u32 v3, v60, 2, -4
	ds_read_b32 v3, v3
.LBB12_55:
	s_or_b64 exec, exec, s[26:27]
	v_add_u32_e32 v60, -1, v13
	v_and_b32_e32 v61, 64, v13
	v_cmp_lt_i32_e64 s[24:25], v60, v61
	v_cndmask_b32_e64 v60, v60, v13, s[24:25]
	s_waitcnt lgkmcnt(0)
	v_add_u32_e32 v59, v3, v59
	v_lshlrev_b32_e32 v60, 2, v60
	ds_bpermute_b32 v59, v60, v59
	v_cmp_eq_u32_e64 s[24:25], 0, v13
	s_waitcnt lgkmcnt(0)
	v_cndmask_b32_e64 v3, v59, v3, s[24:25]
	v_cmp_ne_u32_e64 s[24:25], 0, v2
	v_cndmask_b32_e64 v3, 0, v3, s[24:25]
	v_add_u32_e32 v6, v3, v6
	v_add_u32_e32 v7, v6, v7
	;; [unrolled: 1-line block ×4, first 2 shown]
	ds_write2_b32 v9, v3, v6 offset0:4 offset1:5
	ds_write2_b32 v57, v7, v4 offset0:2 offset1:3
	ds_write_b32 v57, v5 offset:16
	s_waitcnt lgkmcnt(0)
	s_barrier
	ds_read_b32 v5, v17 offset:16
	ds_read_b32 v6, v22 offset:16
	;; [unrolled: 1-line block ×13, first 2 shown]
	v_add_u32_e32 v9, 1, v2
	s_movk_i32 s24, 0x100
	v_cmp_ne_u32_e64 s[24:25], s24, v9
	v_mov_b32_e32 v3, 0xc00
	s_and_saveexec_b64 s[26:27], s[24:25]
	s_cbranch_execz .LBB12_57
; %bb.56:
	v_mul_u32_u24_e32 v3, 5, v9
	v_lshlrev_b32_e32 v3, 2, v3
	ds_read_b32 v3, v3 offset:16
.LBB12_57:
	s_or_b64 exec, exec, s[26:27]
	s_waitcnt lgkmcnt(1)
	v_add_u32_e32 v45, v11, v14
	v_add3_u32 v44, v18, v15, v5
	v_lshlrev_b32_e32 v5, 1, v45
	v_add3_u32 v43, v25, v20, v6
	s_waitcnt lgkmcnt(0)
	s_barrier
	ds_write_b16 v5, v8 offset:2048
	v_lshlrev_b32_e32 v5, 1, v44
	v_add3_u32 v42, v29, v26, v7
	ds_write_b16 v5, v10 offset:2048
	v_lshlrev_b32_e32 v5, 1, v43
	v_add3_u32 v41, v34, v31, v17
	;; [unrolled: 3-line block ×8, first 2 shown]
	ds_write_b16 v5, v32 offset:2048
	v_lshlrev_b32_e32 v5, 1, v36
	v_lshl_add_u32 v6, s6, 8, v2
	v_mov_b32_e32 v7, 0
	v_add3_u32 v34, v58, v23, v60
	ds_write_b16 v5, v27 offset:2048
	v_lshlrev_b32_e32 v5, 1, v35
	v_lshlrev_b64 v[8:9], 2, v[6:7]
	ds_write_b16 v5, v21 offset:2048
	v_lshlrev_b32_e32 v5, 1, v34
	v_sub_u32_e32 v32, v3, v4
	v_mov_b32_e32 v3, s73
	v_add_co_u32_e64 v8, s[24:25], s72, v8
	ds_write_b16 v5, v16 offset:2048
	v_addc_co_u32_e64 v9, s[24:25], v3, v9, s[24:25]
	v_or_b32_e32 v5, 2.0, v32
	s_waitcnt lgkmcnt(0)
	s_barrier
	global_store_dword v[8:9], v5, off
	s_mov_b64 s[26:27], 0
	s_brev_b32 s34, 1
	s_mov_b32 s35, s7
	v_mov_b32_e32 v5, 0
                                        ; implicit-def: $sgpr24_sgpr25
	s_branch .LBB12_59
.LBB12_58:                              ;   in Loop: Header=BB12_59 Depth=1
	s_or_b64 exec, exec, s[28:29]
	v_and_b32_e32 v10, 0x3fffffff, v14
	v_add_u32_e32 v5, v10, v5
	v_cmp_eq_u32_e64 s[24:25], s34, v6
	s_and_b64 s[28:29], exec, s[24:25]
	s_or_b64 s[26:27], s[28:29], s[26:27]
	s_andn2_b64 exec, exec, s[26:27]
	s_cbranch_execz .LBB12_65
.LBB12_59:                              ; =>This Loop Header: Depth=1
                                        ;     Child Loop BB12_62 Depth 2
	s_or_b64 s[24:25], s[24:25], exec
	s_cmp_eq_u32 s35, 0
	s_cbranch_scc1 .LBB12_64
; %bb.60:                               ;   in Loop: Header=BB12_59 Depth=1
	s_add_i32 s35, s35, -1
	v_lshl_add_u32 v6, s35, 8, v2
	v_lshlrev_b64 v[10:11], 2, v[6:7]
	v_add_co_u32_e64 v10, s[24:25], s72, v10
	v_addc_co_u32_e64 v11, s[24:25], v3, v11, s[24:25]
	global_load_dword v14, v[10:11], off glc
	s_waitcnt vmcnt(0)
	v_and_b32_e32 v6, -2.0, v14
	v_cmp_eq_u32_e64 s[24:25], 0, v6
	s_and_saveexec_b64 s[28:29], s[24:25]
	s_cbranch_execz .LBB12_58
; %bb.61:                               ;   in Loop: Header=BB12_59 Depth=1
	s_mov_b64 s[30:31], 0
.LBB12_62:                              ;   Parent Loop BB12_59 Depth=1
                                        ; =>  This Inner Loop Header: Depth=2
	global_load_dword v14, v[10:11], off glc
	s_waitcnt vmcnt(0)
	v_and_b32_e32 v6, -2.0, v14
	v_cmp_ne_u32_e64 s[24:25], 0, v6
	s_or_b64 s[30:31], s[24:25], s[30:31]
	s_andn2_b64 exec, exec, s[30:31]
	s_cbranch_execnz .LBB12_62
; %bb.63:                               ;   in Loop: Header=BB12_59 Depth=1
	s_or_b64 exec, exec, s[30:31]
	s_branch .LBB12_58
.LBB12_64:                              ;   in Loop: Header=BB12_59 Depth=1
                                        ; implicit-def: $sgpr35
	s_and_b64 s[28:29], exec, s[24:25]
	s_or_b64 s[26:27], s[28:29], s[26:27]
	s_andn2_b64 exec, exec, s[26:27]
	s_cbranch_execnz .LBB12_59
.LBB12_65:
	s_or_b64 exec, exec, s[26:27]
	v_add_u32_e32 v3, v5, v32
	v_or_b32_e32 v3, 0x80000000, v3
	global_store_dword v[8:9], v3, off
	v_lshlrev_b32_e32 v33, 3, v2
	global_load_dwordx2 v[6:7], v33, s[64:65]
	v_sub_co_u32_e64 v8, s[24:25], v5, v4
	v_subb_co_u32_e64 v9, s[24:25], 0, 0, s[24:25]
	v_mov_b32_e32 v3, 0
	v_mov_b32_e32 v5, v3
	s_waitcnt vmcnt(0)
	v_add_co_u32_e64 v6, s[24:25], v8, v6
	v_addc_co_u32_e64 v7, s[24:25], v9, v7, s[24:25]
	v_cmp_gt_u32_e64 s[24:25], s70, v2
	ds_write_b64 v33, v[6:7]
	s_waitcnt lgkmcnt(0)
	s_barrier
	s_and_saveexec_b64 s[28:29], s[24:25]
	s_cbranch_execz .LBB12_67
; %bb.66:
	v_mad_i32_i24 v6, v2, -6, v33
	ds_read_u16 v8, v6 offset:2048
	s_movk_i32 s26, 0x8000
	v_mov_b32_e32 v9, 0x7fff
	v_mov_b32_e32 v10, s59
	s_waitcnt lgkmcnt(0)
	v_cmp_ne_u16_e64 s[26:27], s26, v8
	v_cndmask_b32_e64 v6, v9, v8, s[26:27]
	v_lshrrev_b32_sdwa v6, s68, v6 dst_sel:DWORD dst_unused:UNUSED_PAD src0_sel:DWORD src1_sel:WORD_0
	v_and_b32_e32 v6, s74, v6
	v_lshlrev_b32_e32 v6, 3, v6
	ds_read_b64 v[6:7], v6
	v_cmp_gt_i16_e64 s[26:27], 0, v8
	v_cndmask_b32_e64 v9, v9, 0, s[26:27]
	v_xor_b32_e32 v8, v9, v8
	v_lshlrev_b32_e32 v9, 1, v2
	s_waitcnt lgkmcnt(0)
	v_lshlrev_b64 v[6:7], 1, v[6:7]
	v_add_co_u32_e64 v6, s[26:27], s58, v6
	v_addc_co_u32_e64 v7, s[26:27], v10, v7, s[26:27]
	v_add_co_u32_e64 v6, s[26:27], v6, v9
	v_addc_co_u32_e64 v7, s[26:27], 0, v7, s[26:27]
	global_store_short v[6:7], v8, off
.LBB12_67:
	s_or_b64 exec, exec, s[28:29]
	v_add_u32_e32 v6, 0x100, v2
	v_cmp_gt_u32_e64 s[26:27], s70, v6
	s_and_saveexec_b64 s[30:31], s[26:27]
	s_cbranch_execz .LBB12_69
; %bb.68:
	v_lshlrev_b32_e32 v8, 1, v2
	ds_read_u16 v9, v8 offset:2560
	s_movk_i32 s28, 0x8000
	v_mov_b32_e32 v10, 0x7fff
	v_mov_b32_e32 v11, s59
	s_waitcnt lgkmcnt(0)
	v_cmp_ne_u16_e64 s[28:29], s28, v9
	v_cndmask_b32_e64 v6, v10, v9, s[28:29]
	v_lshrrev_b32_sdwa v6, s68, v6 dst_sel:DWORD dst_unused:UNUSED_PAD src0_sel:DWORD src1_sel:WORD_0
	v_and_b32_e32 v6, s74, v6
	v_lshlrev_b32_e32 v6, 3, v6
	ds_read_b64 v[6:7], v6
	v_cmp_gt_i16_e64 s[28:29], 0, v9
	v_cndmask_b32_e64 v10, v10, 0, s[28:29]
	v_xor_b32_e32 v9, v10, v9
	s_waitcnt lgkmcnt(0)
	v_lshlrev_b64 v[6:7], 1, v[6:7]
	v_add_co_u32_e64 v6, s[28:29], s58, v6
	v_addc_co_u32_e64 v7, s[28:29], v11, v7, s[28:29]
	v_add_co_u32_e64 v6, s[28:29], v6, v8
	v_addc_co_u32_e64 v7, s[28:29], 0, v7, s[28:29]
	global_store_short v[6:7], v9, off offset:512
.LBB12_69:
	s_or_b64 exec, exec, s[30:31]
	v_add_u32_e32 v46, 0x200, v2
	v_cmp_gt_u32_e64 s[28:29], s70, v46
	s_and_saveexec_b64 s[34:35], s[28:29]
	s_cbranch_execz .LBB12_71
; %bb.70:
	v_lshlrev_b32_e32 v8, 1, v2
	ds_read_u16 v9, v8 offset:3072
	s_movk_i32 s30, 0x8000
	v_mov_b32_e32 v10, 0x7fff
	v_mov_b32_e32 v11, s59
	s_waitcnt lgkmcnt(0)
	v_cmp_ne_u16_e64 s[30:31], s30, v9
	v_cndmask_b32_e64 v6, v10, v9, s[30:31]
	v_lshrrev_b32_sdwa v6, s68, v6 dst_sel:DWORD dst_unused:UNUSED_PAD src0_sel:DWORD src1_sel:WORD_0
	v_and_b32_e32 v6, s74, v6
	v_lshlrev_b32_e32 v6, 3, v6
	ds_read_b64 v[6:7], v6
	v_cmp_gt_i16_e64 s[30:31], 0, v9
	v_cndmask_b32_e64 v10, v10, 0, s[30:31]
	v_xor_b32_e32 v9, v10, v9
	s_waitcnt lgkmcnt(0)
	v_lshlrev_b64 v[6:7], 1, v[6:7]
	v_add_co_u32_e64 v6, s[30:31], s58, v6
	v_addc_co_u32_e64 v7, s[30:31], v11, v7, s[30:31]
	v_add_co_u32_e64 v6, s[30:31], v6, v8
	v_addc_co_u32_e64 v7, s[30:31], 0, v7, s[30:31]
	global_store_short v[6:7], v9, off offset:1024
.LBB12_71:
	;; [unrolled: 29-line block ×3, first 2 shown]
	s_or_b64 exec, exec, s[36:37]
	v_or_b32_e32 v48, 0x400, v2
	v_cmp_gt_u32_e64 s[34:35], s70, v48
	s_and_saveexec_b64 s[38:39], s[34:35]
	s_cbranch_execz .LBB12_75
; %bb.74:
	v_lshlrev_b32_e32 v8, 1, v2
	ds_read_u16 v9, v8 offset:4096
	s_movk_i32 s36, 0x8000
	v_mov_b32_e32 v10, 0x7fff
	v_mov_b32_e32 v11, s59
	s_waitcnt lgkmcnt(0)
	v_cmp_ne_u16_e64 s[36:37], s36, v9
	v_cndmask_b32_e64 v6, v10, v9, s[36:37]
	v_lshrrev_b32_sdwa v6, s68, v6 dst_sel:DWORD dst_unused:UNUSED_PAD src0_sel:DWORD src1_sel:WORD_0
	v_and_b32_e32 v6, s74, v6
	v_lshlrev_b32_e32 v6, 3, v6
	ds_read_b64 v[6:7], v6
	v_cmp_gt_i16_e64 s[36:37], 0, v9
	v_cndmask_b32_e64 v10, v10, 0, s[36:37]
	v_xor_b32_e32 v9, v10, v9
	s_waitcnt lgkmcnt(0)
	v_lshlrev_b64 v[6:7], 1, v[6:7]
	v_add_co_u32_e64 v6, s[36:37], s58, v6
	v_addc_co_u32_e64 v7, s[36:37], v11, v7, s[36:37]
	v_add_co_u32_e64 v6, s[36:37], v6, v8
	v_addc_co_u32_e64 v7, s[36:37], 0, v7, s[36:37]
	global_store_short v[6:7], v9, off offset:2048
.LBB12_75:
	s_or_b64 exec, exec, s[38:39]
	v_add_u32_e32 v49, 0x500, v2
	v_cmp_gt_u32_e64 s[36:37], s70, v49
	s_and_saveexec_b64 s[40:41], s[36:37]
	s_cbranch_execz .LBB12_77
; %bb.76:
	v_lshlrev_b32_e32 v8, 1, v2
	ds_read_u16 v9, v8 offset:4608
	s_movk_i32 s38, 0x8000
	v_mov_b32_e32 v10, 0x7fff
	v_mov_b32_e32 v11, s59
	s_waitcnt lgkmcnt(0)
	v_cmp_ne_u16_e64 s[38:39], s38, v9
	v_cndmask_b32_e64 v6, v10, v9, s[38:39]
	v_lshrrev_b32_sdwa v6, s68, v6 dst_sel:DWORD dst_unused:UNUSED_PAD src0_sel:DWORD src1_sel:WORD_0
	v_and_b32_e32 v6, s74, v6
	v_lshlrev_b32_e32 v6, 3, v6
	ds_read_b64 v[6:7], v6
	v_cmp_gt_i16_e64 s[38:39], 0, v9
	v_cndmask_b32_e64 v10, v10, 0, s[38:39]
	v_xor_b32_e32 v9, v10, v9
	s_waitcnt lgkmcnt(0)
	v_lshlrev_b64 v[6:7], 1, v[6:7]
	v_add_co_u32_e64 v6, s[38:39], s58, v6
	v_addc_co_u32_e64 v7, s[38:39], v11, v7, s[38:39]
	v_add_co_u32_e64 v6, s[38:39], v6, v8
	v_addc_co_u32_e64 v7, s[38:39], 0, v7, s[38:39]
	global_store_short v[6:7], v9, off offset:2560
.LBB12_77:
	s_or_b64 exec, exec, s[40:41]
	v_add_u32_e32 v50, 0x600, v2
	;; [unrolled: 29-line block ×3, first 2 shown]
	v_cmp_gt_u32_e64 s[40:41], s70, v51
	s_and_saveexec_b64 s[44:45], s[40:41]
	s_cbranch_execz .LBB12_81
; %bb.80:
	v_lshlrev_b32_e32 v8, 1, v2
	ds_read_u16 v9, v8 offset:5632
	s_movk_i32 s42, 0x8000
	v_mov_b32_e32 v10, 0x7fff
	v_mov_b32_e32 v11, s59
	s_waitcnt lgkmcnt(0)
	v_cmp_ne_u16_e64 s[42:43], s42, v9
	v_cndmask_b32_e64 v6, v10, v9, s[42:43]
	v_lshrrev_b32_sdwa v6, s68, v6 dst_sel:DWORD dst_unused:UNUSED_PAD src0_sel:DWORD src1_sel:WORD_0
	v_and_b32_e32 v6, s74, v6
	v_lshlrev_b32_e32 v6, 3, v6
	ds_read_b64 v[6:7], v6
	v_cmp_gt_i16_e64 s[42:43], 0, v9
	v_cndmask_b32_e64 v10, v10, 0, s[42:43]
	v_xor_b32_e32 v9, v10, v9
	s_waitcnt lgkmcnt(0)
	v_lshlrev_b64 v[6:7], 1, v[6:7]
	v_add_co_u32_e64 v6, s[42:43], s58, v6
	v_addc_co_u32_e64 v7, s[42:43], v11, v7, s[42:43]
	v_add_co_u32_e64 v6, s[42:43], v6, v8
	v_addc_co_u32_e64 v7, s[42:43], 0, v7, s[42:43]
	global_store_short v[6:7], v9, off offset:3584
.LBB12_81:
	s_or_b64 exec, exec, s[44:45]
	v_or_b32_e32 v52, 0x800, v2
	v_cmp_gt_u32_e64 s[42:43], s70, v52
	s_and_saveexec_b64 s[46:47], s[42:43]
	s_cbranch_execz .LBB12_83
; %bb.82:
	v_lshlrev_b32_e32 v6, 1, v2
	ds_read_u16 v8, v6 offset:6144
	s_movk_i32 s44, 0x8000
	v_mov_b32_e32 v9, 0x7fff
	v_mov_b32_e32 v10, s59
	s_waitcnt lgkmcnt(0)
	v_cmp_ne_u16_e64 s[44:45], s44, v8
	v_cndmask_b32_e64 v6, v9, v8, s[44:45]
	v_lshrrev_b32_sdwa v6, s68, v6 dst_sel:DWORD dst_unused:UNUSED_PAD src0_sel:DWORD src1_sel:WORD_0
	v_and_b32_e32 v6, s74, v6
	v_lshlrev_b32_e32 v6, 3, v6
	ds_read_b64 v[6:7], v6
	v_cmp_gt_i16_e64 s[44:45], 0, v8
	v_cndmask_b32_e64 v9, v9, 0, s[44:45]
	v_xor_b32_e32 v8, v9, v8
	v_lshlrev_b32_e32 v9, 1, v52
	s_waitcnt lgkmcnt(0)
	v_lshlrev_b64 v[6:7], 1, v[6:7]
	v_add_co_u32_e64 v6, s[44:45], s58, v6
	v_addc_co_u32_e64 v7, s[44:45], v10, v7, s[44:45]
	v_add_co_u32_e64 v6, s[44:45], v6, v9
	v_addc_co_u32_e64 v7, s[44:45], 0, v7, s[44:45]
	global_store_short v[6:7], v8, off
.LBB12_83:
	s_or_b64 exec, exec, s[46:47]
	v_add_u32_e32 v53, 0x900, v2
	v_cmp_gt_u32_e64 s[44:45], s70, v53
	s_and_saveexec_b64 s[48:49], s[44:45]
	s_cbranch_execz .LBB12_85
; %bb.84:
	v_lshlrev_b32_e32 v6, 1, v2
	ds_read_u16 v8, v6 offset:6656
	s_movk_i32 s46, 0x8000
	v_mov_b32_e32 v9, 0x7fff
	v_mov_b32_e32 v10, s59
	s_waitcnt lgkmcnt(0)
	v_cmp_ne_u16_e64 s[46:47], s46, v8
	v_cndmask_b32_e64 v6, v9, v8, s[46:47]
	v_lshrrev_b32_sdwa v6, s68, v6 dst_sel:DWORD dst_unused:UNUSED_PAD src0_sel:DWORD src1_sel:WORD_0
	v_and_b32_e32 v6, s74, v6
	v_lshlrev_b32_e32 v6, 3, v6
	ds_read_b64 v[6:7], v6
	v_cmp_gt_i16_e64 s[46:47], 0, v8
	v_cndmask_b32_e64 v9, v9, 0, s[46:47]
	v_xor_b32_e32 v8, v9, v8
	v_lshlrev_b32_e32 v9, 1, v53
	s_waitcnt lgkmcnt(0)
	v_lshlrev_b64 v[6:7], 1, v[6:7]
	v_add_co_u32_e64 v6, s[46:47], s58, v6
	v_addc_co_u32_e64 v7, s[46:47], v10, v7, s[46:47]
	v_add_co_u32_e64 v6, s[46:47], v6, v9
	v_addc_co_u32_e64 v7, s[46:47], 0, v7, s[46:47]
	global_store_short v[6:7], v8, off
.LBB12_85:
	s_or_b64 exec, exec, s[48:49]
	v_add_u32_e32 v54, 0xa00, v2
	;; [unrolled: 30-line block ×3, first 2 shown]
	v_cmp_gt_u32_e64 s[48:49], s70, v55
	s_and_saveexec_b64 s[70:71], s[48:49]
	s_cbranch_execz .LBB12_89
; %bb.88:
	v_lshlrev_b32_e32 v6, 1, v2
	ds_read_u16 v8, v6 offset:7680
	s_movk_i32 s52, 0x8000
	v_mov_b32_e32 v9, 0x7fff
	v_mov_b32_e32 v10, s59
	s_waitcnt lgkmcnt(0)
	v_cmp_ne_u16_e64 s[52:53], s52, v8
	v_cndmask_b32_e64 v6, v9, v8, s[52:53]
	v_lshrrev_b32_sdwa v6, s68, v6 dst_sel:DWORD dst_unused:UNUSED_PAD src0_sel:DWORD src1_sel:WORD_0
	v_and_b32_e32 v6, s74, v6
	v_lshlrev_b32_e32 v6, 3, v6
	ds_read_b64 v[6:7], v6
	v_cmp_gt_i16_e64 s[52:53], 0, v8
	v_cndmask_b32_e64 v9, v9, 0, s[52:53]
	v_xor_b32_e32 v8, v9, v8
	v_lshlrev_b32_e32 v9, 1, v55
	s_waitcnt lgkmcnt(0)
	v_lshlrev_b64 v[6:7], 1, v[6:7]
	v_add_co_u32_e64 v6, s[52:53], s58, v6
	v_addc_co_u32_e64 v7, s[52:53], v10, v7, s[52:53]
	v_add_co_u32_e64 v6, s[52:53], v6, v9
	v_addc_co_u32_e64 v7, s[52:53], 0, v7, s[52:53]
	global_store_short v[6:7], v8, off
.LBB12_89:
	s_or_b64 exec, exec, s[70:71]
	s_lshl_b64 s[52:53], s[54:55], 3
	s_add_u32 s52, s60, s52
	s_addc_u32 s53, s61, s53
	v_lshlrev_b32_e32 v6, 3, v13
	v_mov_b32_e32 v7, s53
	v_add_co_u32_e64 v6, s[52:53], s52, v6
	v_addc_co_u32_e64 v7, s[52:53], 0, v7, s[52:53]
	v_lshlrev_b32_e32 v8, 3, v12
	v_add_co_u32_e64 v30, s[52:53], v6, v8
	v_addc_co_u32_e64 v31, s[52:53], 0, v7, s[52:53]
                                        ; implicit-def: $vgpr6_vgpr7
	s_and_saveexec_b64 s[52:53], vcc
	s_xor_b64 s[52:53], exec, s[52:53]
	s_cbranch_execnz .LBB12_174
; %bb.90:
	s_or_b64 exec, exec, s[52:53]
                                        ; implicit-def: $vgpr8_vgpr9
	s_and_saveexec_b64 s[52:53], s[0:1]
	s_cbranch_execnz .LBB12_175
.LBB12_91:
	s_or_b64 exec, exec, s[52:53]
                                        ; implicit-def: $vgpr10_vgpr11
	s_and_saveexec_b64 s[0:1], s[2:3]
	s_cbranch_execnz .LBB12_176
.LBB12_92:
	s_or_b64 exec, exec, s[0:1]
                                        ; implicit-def: $vgpr12_vgpr13
	s_and_saveexec_b64 s[0:1], s[50:51]
	s_cbranch_execnz .LBB12_177
.LBB12_93:
	s_or_b64 exec, exec, s[0:1]
                                        ; implicit-def: $vgpr14_vgpr15
	s_and_saveexec_b64 s[0:1], s[8:9]
	s_cbranch_execnz .LBB12_178
.LBB12_94:
	s_or_b64 exec, exec, s[0:1]
                                        ; implicit-def: $vgpr16_vgpr17
	s_and_saveexec_b64 s[0:1], s[12:13]
	s_cbranch_execnz .LBB12_179
.LBB12_95:
	s_or_b64 exec, exec, s[0:1]
                                        ; implicit-def: $vgpr18_vgpr19
	s_and_saveexec_b64 s[0:1], s[16:17]
	s_cbranch_execnz .LBB12_180
.LBB12_96:
	s_or_b64 exec, exec, s[0:1]
                                        ; implicit-def: $vgpr20_vgpr21
	s_and_saveexec_b64 s[0:1], s[20:21]
	s_cbranch_execnz .LBB12_181
.LBB12_97:
	s_or_b64 exec, exec, s[0:1]
                                        ; implicit-def: $vgpr22_vgpr23
	s_and_saveexec_b64 s[0:1], s[22:23]
	s_cbranch_execnz .LBB12_182
.LBB12_98:
	s_or_b64 exec, exec, s[0:1]
                                        ; implicit-def: $vgpr24_vgpr25
	s_and_saveexec_b64 s[0:1], s[18:19]
	s_cbranch_execnz .LBB12_183
.LBB12_99:
	s_or_b64 exec, exec, s[0:1]
                                        ; implicit-def: $vgpr26_vgpr27
	s_and_saveexec_b64 s[0:1], s[14:15]
	s_cbranch_execnz .LBB12_184
.LBB12_100:
	s_or_b64 exec, exec, s[0:1]
                                        ; implicit-def: $vgpr28_vgpr29
	s_and_saveexec_b64 s[0:1], s[10:11]
	s_cbranch_execnz .LBB12_185
.LBB12_101:
	s_or_b64 exec, exec, s[0:1]
                                        ; implicit-def: $vgpr65
	s_and_saveexec_b64 s[0:1], s[24:25]
	s_cbranch_execnz .LBB12_186
.LBB12_102:
	s_or_b64 exec, exec, s[0:1]
                                        ; implicit-def: $vgpr64
	s_and_saveexec_b64 s[0:1], s[26:27]
	s_cbranch_execnz .LBB12_187
.LBB12_103:
	s_or_b64 exec, exec, s[0:1]
                                        ; implicit-def: $vgpr63
	s_and_saveexec_b64 s[0:1], s[28:29]
	s_cbranch_execnz .LBB12_188
.LBB12_104:
	s_or_b64 exec, exec, s[0:1]
                                        ; implicit-def: $vgpr62
	s_and_saveexec_b64 s[0:1], s[30:31]
	s_cbranch_execnz .LBB12_189
.LBB12_105:
	s_or_b64 exec, exec, s[0:1]
                                        ; implicit-def: $vgpr61
	s_and_saveexec_b64 s[0:1], s[34:35]
	s_cbranch_execnz .LBB12_190
.LBB12_106:
	s_or_b64 exec, exec, s[0:1]
                                        ; implicit-def: $vgpr60
	s_and_saveexec_b64 s[0:1], s[36:37]
	s_cbranch_execnz .LBB12_191
.LBB12_107:
	s_or_b64 exec, exec, s[0:1]
                                        ; implicit-def: $vgpr59
	s_and_saveexec_b64 s[0:1], s[38:39]
	s_cbranch_execnz .LBB12_192
.LBB12_108:
	s_or_b64 exec, exec, s[0:1]
                                        ; implicit-def: $vgpr58
	s_and_saveexec_b64 s[0:1], s[40:41]
	s_cbranch_execnz .LBB12_193
.LBB12_109:
	s_or_b64 exec, exec, s[0:1]
                                        ; implicit-def: $vgpr57
	s_and_saveexec_b64 s[0:1], s[42:43]
	s_cbranch_execz .LBB12_111
.LBB12_110:
	v_lshlrev_b32_e32 v30, 1, v2
	ds_read_u16 v30, v30 offset:6144
	s_movk_i32 s2, 0x8000
	v_mov_b32_e32 v31, 0x7fff
	s_waitcnt lgkmcnt(0)
	v_cmp_ne_u16_e32 vcc, s2, v30
	v_cndmask_b32_e32 v30, v31, v30, vcc
	v_lshrrev_b32_sdwa v30, s68, v30 dst_sel:DWORD dst_unused:UNUSED_PAD src0_sel:DWORD src1_sel:WORD_0
	v_and_b32_e32 v57, s74, v30
.LBB12_111:
	s_or_b64 exec, exec, s[0:1]
	v_mov_b32_e32 v30, 0
	v_mov_b32_e32 v56, 0
	s_and_saveexec_b64 s[0:1], s[44:45]
	s_cbranch_execnz .LBB12_194
; %bb.112:
	s_or_b64 exec, exec, s[0:1]
	s_and_saveexec_b64 s[0:1], s[46:47]
	s_cbranch_execnz .LBB12_195
.LBB12_113:
	s_or_b64 exec, exec, s[0:1]
	v_mov_b32_e32 v31, 0
	s_and_saveexec_b64 s[0:1], s[48:49]
	s_cbranch_execz .LBB12_115
.LBB12_114:
	v_lshlrev_b32_e32 v31, 1, v2
	ds_read_u16 v31, v31 offset:7680
	s_movk_i32 s2, 0x8000
	v_mov_b32_e32 v66, 0x7fff
	s_waitcnt lgkmcnt(0)
	v_cmp_ne_u16_e32 vcc, s2, v31
	v_cndmask_b32_e32 v31, v66, v31, vcc
	v_lshrrev_b32_sdwa v31, s68, v31 dst_sel:DWORD dst_unused:UNUSED_PAD src0_sel:DWORD src1_sel:WORD_0
	v_and_b32_e32 v31, s74, v31
.LBB12_115:
	s_or_b64 exec, exec, s[0:1]
	v_lshlrev_b32_e32 v45, 3, v45
	s_barrier
	s_waitcnt vmcnt(0)
	ds_write_b64 v45, v[6:7] offset:2048
	v_lshlrev_b32_e32 v6, 3, v44
	ds_write_b64 v6, v[8:9] offset:2048
	v_lshlrev_b32_e32 v6, 3, v43
	;; [unrolled: 2-line block ×11, first 2 shown]
	ds_write_b64 v6, v[28:29] offset:2048
	s_waitcnt lgkmcnt(0)
	s_barrier
	s_and_saveexec_b64 s[0:1], s[24:25]
	s_cbranch_execnz .LBB12_196
; %bb.116:
	s_or_b64 exec, exec, s[0:1]
	s_and_saveexec_b64 s[0:1], s[26:27]
	s_cbranch_execnz .LBB12_197
.LBB12_117:
	s_or_b64 exec, exec, s[0:1]
	s_and_saveexec_b64 s[0:1], s[28:29]
	s_cbranch_execnz .LBB12_198
.LBB12_118:
	s_or_b64 exec, exec, s[0:1]
	s_and_saveexec_b64 s[0:1], s[30:31]
	s_cbranch_execnz .LBB12_199
.LBB12_119:
	s_or_b64 exec, exec, s[0:1]
	s_and_saveexec_b64 s[0:1], s[34:35]
	s_cbranch_execnz .LBB12_200
.LBB12_120:
	s_or_b64 exec, exec, s[0:1]
	s_and_saveexec_b64 s[0:1], s[36:37]
	s_cbranch_execnz .LBB12_201
.LBB12_121:
	s_or_b64 exec, exec, s[0:1]
	s_and_saveexec_b64 s[0:1], s[38:39]
	s_cbranch_execnz .LBB12_202
.LBB12_122:
	s_or_b64 exec, exec, s[0:1]
	s_and_saveexec_b64 s[0:1], s[40:41]
	s_cbranch_execnz .LBB12_203
.LBB12_123:
	s_or_b64 exec, exec, s[0:1]
	s_and_saveexec_b64 s[0:1], s[42:43]
	s_cbranch_execnz .LBB12_204
.LBB12_124:
	s_or_b64 exec, exec, s[0:1]
	s_and_saveexec_b64 s[0:1], s[44:45]
	s_cbranch_execnz .LBB12_205
.LBB12_125:
	s_or_b64 exec, exec, s[0:1]
	s_and_saveexec_b64 s[0:1], s[46:47]
	s_cbranch_execnz .LBB12_206
.LBB12_126:
	s_or_b64 exec, exec, s[0:1]
	s_and_saveexec_b64 s[0:1], s[48:49]
	s_cbranch_execz .LBB12_128
.LBB12_127:
	v_lshlrev_b32_e32 v6, 3, v31
	ds_read_b64 v[6:7], v6
	v_lshlrev_b32_e32 v8, 3, v2
	ds_read_b64 v[8:9], v8 offset:24576
	v_mov_b32_e32 v10, s63
	s_waitcnt lgkmcnt(1)
	v_lshlrev_b64 v[6:7], 3, v[6:7]
	v_add_co_u32_e32 v6, vcc, s62, v6
	v_addc_co_u32_e32 v7, vcc, v10, v7, vcc
	v_lshlrev_b32_e32 v10, 3, v55
	v_add_co_u32_e32 v6, vcc, v6, v10
	v_addc_co_u32_e32 v7, vcc, 0, v7, vcc
	s_waitcnt lgkmcnt(0)
	global_store_dwordx2 v[6:7], v[8:9], off
.LBB12_128:
	s_or_b64 exec, exec, s[0:1]
	s_add_i32 s33, s33, -1
	s_cmp_eq_u32 s6, s33
	s_cselect_b64 s[0:1], -1, 0
	s_branch .LBB12_171
.LBB12_129:
	s_mov_b64 s[0:1], 0
                                        ; implicit-def: $vgpr33
                                        ; implicit-def: $vgpr2_vgpr3
                                        ; implicit-def: $vgpr4_vgpr5
                                        ; implicit-def: $vgpr32
	s_cbranch_execz .LBB12_171
; %bb.130:
	s_mov_b32 s55, 0
	s_lshl_b64 s[0:1], s[54:55], 1
	v_mbcnt_hi_u32_b32 v11, -1, v1
	s_add_u32 s0, s56, s0
	v_lshlrev_b32_e32 v1, 1, v11
	v_and_b32_e32 v2, 0x3ff, v0
	v_add_co_u32_e32 v1, vcc, s0, v1
	s_load_dword s8, s[4:5], 0x50
	s_load_dword s0, s[4:5], 0x5c
	s_addc_u32 s1, s57, s1
	v_and_b32_e32 v7, 0xc0, v2
	v_mul_u32_u24_e32 v10, 12, v7
	v_mov_b32_e32 v3, s1
	v_addc_co_u32_e32 v3, vcc, 0, v3, vcc
	v_lshlrev_b32_e32 v5, 1, v10
	v_add_co_u32_e32 v8, vcc, v1, v5
	s_add_u32 s1, s4, 0x50
	v_addc_co_u32_e32 v9, vcc, 0, v3, vcc
	s_addc_u32 s2, s5, 0
	s_waitcnt lgkmcnt(0)
	s_lshr_b32 s3, s0, 16
	global_load_ushort v1, v[8:9], off
	s_cmp_lt_u32 s6, s8
	s_cselect_b32 s0, 12, 18
	s_add_u32 s0, s1, s0
	v_mov_b32_e32 v4, 0
	s_addc_u32 s1, s2, 0
	global_load_ushort v5, v4, s[0:1]
	v_mul_u32_u24_e32 v6, 5, v2
	v_lshlrev_b32_e32 v6, 2, v6
	ds_write2_b32 v6, v4, v4 offset0:4 offset1:5
	ds_write2_b32 v6, v4, v4 offset0:6 offset1:7
	ds_write_b32 v6, v4 offset:32
	global_load_ushort v12, v[8:9], off offset:128
	global_load_ushort v16, v[8:9], off offset:256
	;; [unrolled: 1-line block ×11, first 2 shown]
	v_mov_b32_e32 v13, 0x7fff
	v_bfe_u32 v3, v0, 10, 10
	v_bfe_u32 v0, v0, 20, 10
	v_mad_u32_u24 v0, v0, s3, v3
	s_movk_i32 s2, 0x8000
	s_lshl_b32 s0, -1, s69
	s_not_b32 s9, s0
	s_waitcnt lgkmcnt(0)
	s_barrier
	s_waitcnt lgkmcnt(0)
	; wave barrier
	s_waitcnt vmcnt(12)
	v_cmp_gt_i16_e32 vcc, 0, v1
	v_cndmask_b32_e64 v3, v13, 0, vcc
	v_xor_b32_e32 v3, v3, v1
	v_cmp_ne_u16_e32 vcc, s2, v3
	v_cndmask_b32_e32 v8, v13, v3, vcc
	s_waitcnt vmcnt(11)
	v_mad_u64_u32 v[0:1], s[0:1], v0, v5, v[2:3]
	v_lshrrev_b32_sdwa v1, s68, v8 dst_sel:DWORD dst_unused:UNUSED_PAD src0_sel:DWORD src1_sel:WORD_0
	v_lshrrev_b32_e32 v18, 6, v0
	v_and_b32_e32 v0, s9, v1
	v_mul_u32_u24_e32 v1, 5, v0
	v_and_b32_e32 v9, 1, v0
	v_add_lshl_u32 v8, v18, v1, 2
	v_add_co_u32_e32 v1, vcc, -1, v9
	v_lshlrev_b32_e32 v5, 30, v0
	v_addc_co_u32_e64 v14, s[0:1], 0, -1, vcc
	v_cmp_ne_u32_e32 vcc, 0, v9
	v_cmp_gt_i64_e64 s[0:1], 0, v[4:5]
	v_not_b32_e32 v9, v5
	v_lshlrev_b32_e32 v5, 29, v0
	v_xor_b32_e32 v14, vcc_hi, v14
	v_xor_b32_e32 v1, vcc_lo, v1
	v_ashrrev_i32_e32 v9, 31, v9
	v_cmp_gt_i64_e32 vcc, 0, v[4:5]
	v_not_b32_e32 v15, v5
	v_lshlrev_b32_e32 v5, 28, v0
	v_and_b32_e32 v14, exec_hi, v14
	v_and_b32_e32 v1, exec_lo, v1
	v_xor_b32_e32 v19, s1, v9
	v_xor_b32_e32 v9, s0, v9
	v_ashrrev_i32_e32 v15, 31, v15
	v_cmp_gt_i64_e64 s[0:1], 0, v[4:5]
	v_not_b32_e32 v5, v5
	v_and_b32_e32 v14, v14, v19
	v_and_b32_e32 v1, v1, v9
	v_xor_b32_e32 v9, vcc_hi, v15
	v_xor_b32_e32 v15, vcc_lo, v15
	v_ashrrev_i32_e32 v5, 31, v5
	v_and_b32_e32 v9, v14, v9
	v_and_b32_e32 v1, v1, v15
	v_xor_b32_e32 v14, s1, v5
	v_xor_b32_e32 v5, s0, v5
	v_and_b32_e32 v1, v1, v5
	v_lshlrev_b32_e32 v5, 27, v0
	v_cmp_gt_i64_e32 vcc, 0, v[4:5]
	v_not_b32_e32 v5, v5
	v_ashrrev_i32_e32 v5, 31, v5
	v_and_b32_e32 v9, v9, v14
	v_xor_b32_e32 v14, vcc_hi, v5
	v_xor_b32_e32 v5, vcc_lo, v5
	v_and_b32_e32 v1, v1, v5
	v_lshlrev_b32_e32 v5, 26, v0
	v_cmp_gt_i64_e32 vcc, 0, v[4:5]
	v_not_b32_e32 v5, v5
	v_ashrrev_i32_e32 v5, 31, v5
	v_and_b32_e32 v9, v9, v14
	v_xor_b32_e32 v14, vcc_hi, v5
	v_xor_b32_e32 v5, vcc_lo, v5
	;; [unrolled: 8-line block ×3, first 2 shown]
	v_and_b32_e32 v9, v9, v14
	v_and_b32_e32 v14, v1, v5
	v_lshlrev_b32_e32 v5, 24, v0
	v_not_b32_e32 v0, v5
	v_cmp_gt_i64_e32 vcc, 0, v[4:5]
	v_ashrrev_i32_e32 v0, 31, v0
	v_xor_b32_e32 v1, vcc_hi, v0
	v_xor_b32_e32 v0, vcc_lo, v0
	v_and_b32_e32 v0, v14, v0
	v_and_b32_e32 v1, v9, v1
	v_mbcnt_lo_u32_b32 v5, v0, 0
	v_mbcnt_hi_u32_b32 v9, v1, v5
	v_cmp_eq_u32_e32 vcc, 0, v9
	v_cmp_ne_u64_e64 s[0:1], 0, v[0:1]
	s_and_b64 s[4:5], s[0:1], vcc
	s_and_saveexec_b64 s[0:1], s[4:5]
	s_cbranch_execz .LBB12_132
; %bb.131:
	v_bcnt_u32_b32 v0, v0, 0
	v_bcnt_u32_b32 v0, v1, v0
	ds_write_b32 v8, v0 offset:16
.LBB12_132:
	s_or_b64 exec, exec, s[0:1]
	s_waitcnt vmcnt(10)
	v_cmp_gt_i16_e32 vcc, 0, v12
	v_cndmask_b32_e64 v0, v13, 0, vcc
	v_xor_b32_e32 v12, v0, v12
	v_cmp_ne_u16_e32 vcc, s2, v12
	v_cndmask_b32_e32 v0, v13, v12, vcc
	v_lshrrev_b32_sdwa v0, s68, v0 dst_sel:DWORD dst_unused:UNUSED_PAD src0_sel:DWORD src1_sel:WORD_0
	v_and_b32_e32 v0, s9, v0
	v_mul_u32_u24_e32 v1, 5, v0
	v_add_lshl_u32 v14, v18, v1, 2
	v_and_b32_e32 v1, 1, v0
	v_add_co_u32_e32 v5, vcc, -1, v1
	v_addc_co_u32_e64 v15, s[0:1], 0, -1, vcc
	v_cmp_ne_u32_e32 vcc, 0, v1
	v_xor_b32_e32 v5, vcc_lo, v5
	v_xor_b32_e32 v1, vcc_hi, v15
	v_and_b32_e32 v15, exec_lo, v5
	v_lshlrev_b32_e32 v5, 30, v0
	v_cmp_gt_i64_e32 vcc, 0, v[4:5]
	v_not_b32_e32 v5, v5
	v_ashrrev_i32_e32 v5, 31, v5
	v_xor_b32_e32 v19, vcc_hi, v5
	v_xor_b32_e32 v5, vcc_lo, v5
	v_and_b32_e32 v15, v15, v5
	v_lshlrev_b32_e32 v5, 29, v0
	v_cmp_gt_i64_e32 vcc, 0, v[4:5]
	v_not_b32_e32 v5, v5
	v_and_b32_e32 v1, exec_hi, v1
	v_ashrrev_i32_e32 v5, 31, v5
	v_and_b32_e32 v1, v1, v19
	v_xor_b32_e32 v19, vcc_hi, v5
	v_xor_b32_e32 v5, vcc_lo, v5
	v_and_b32_e32 v15, v15, v5
	v_lshlrev_b32_e32 v5, 28, v0
	v_cmp_gt_i64_e32 vcc, 0, v[4:5]
	v_not_b32_e32 v5, v5
	v_ashrrev_i32_e32 v5, 31, v5
	v_and_b32_e32 v1, v1, v19
	v_xor_b32_e32 v19, vcc_hi, v5
	v_xor_b32_e32 v5, vcc_lo, v5
	v_and_b32_e32 v15, v15, v5
	v_lshlrev_b32_e32 v5, 27, v0
	v_cmp_gt_i64_e32 vcc, 0, v[4:5]
	v_not_b32_e32 v5, v5
	;; [unrolled: 8-line block ×4, first 2 shown]
	v_ashrrev_i32_e32 v5, 31, v5
	v_and_b32_e32 v1, v1, v19
	v_xor_b32_e32 v19, vcc_hi, v5
	v_xor_b32_e32 v5, vcc_lo, v5
	v_and_b32_e32 v15, v15, v5
	v_lshlrev_b32_e32 v5, 24, v0
	v_not_b32_e32 v0, v5
	v_cmp_gt_i64_e32 vcc, 0, v[4:5]
	v_ashrrev_i32_e32 v0, 31, v0
	v_xor_b32_e32 v4, vcc_hi, v0
	v_xor_b32_e32 v0, vcc_lo, v0
	; wave barrier
	ds_read_b32 v13, v14 offset:16
	v_and_b32_e32 v1, v1, v19
	v_and_b32_e32 v0, v15, v0
	;; [unrolled: 1-line block ×3, first 2 shown]
	v_mbcnt_lo_u32_b32 v4, v0, 0
	v_mbcnt_hi_u32_b32 v15, v1, v4
	v_cmp_eq_u32_e32 vcc, 0, v15
	v_cmp_ne_u64_e64 s[0:1], 0, v[0:1]
	s_and_b64 s[2:3], s[0:1], vcc
	; wave barrier
	s_and_saveexec_b64 s[0:1], s[2:3]
	s_cbranch_execz .LBB12_134
; %bb.133:
	v_bcnt_u32_b32 v0, v0, 0
	v_bcnt_u32_b32 v0, v1, v0
	s_waitcnt lgkmcnt(0)
	v_add_u32_e32 v0, v13, v0
	ds_write_b32 v14, v0 offset:16
.LBB12_134:
	s_or_b64 exec, exec, s[0:1]
	v_mov_b32_e32 v24, 0x7fff
	s_waitcnt vmcnt(9)
	v_cmp_gt_i16_e32 vcc, 0, v16
	v_cndmask_b32_e64 v1, v24, 0, vcc
	v_xor_b32_e32 v16, v1, v16
	s_movk_i32 s2, 0x8000
	v_cmp_ne_u16_e32 vcc, s2, v16
	v_cndmask_b32_e32 v1, v24, v16, vcc
	v_lshrrev_b32_sdwa v1, s68, v1 dst_sel:DWORD dst_unused:UNUSED_PAD src0_sel:DWORD src1_sel:WORD_0
	v_and_b32_e32 v4, s9, v1
	v_mul_u32_u24_e32 v1, 5, v4
	v_add_lshl_u32 v20, v18, v1, 2
	v_and_b32_e32 v1, 1, v4
	v_add_co_u32_e32 v5, vcc, -1, v1
	v_addc_co_u32_e64 v22, s[0:1], 0, -1, vcc
	v_cmp_ne_u32_e32 vcc, 0, v1
	v_xor_b32_e32 v1, vcc_hi, v22
	v_mov_b32_e32 v0, 0
	v_and_b32_e32 v22, exec_hi, v1
	v_lshlrev_b32_e32 v1, 30, v4
	v_xor_b32_e32 v5, vcc_lo, v5
	v_cmp_gt_i64_e32 vcc, 0, v[0:1]
	v_not_b32_e32 v1, v1
	v_ashrrev_i32_e32 v1, 31, v1
	v_and_b32_e32 v5, exec_lo, v5
	v_xor_b32_e32 v25, vcc_hi, v1
	v_xor_b32_e32 v1, vcc_lo, v1
	v_and_b32_e32 v5, v5, v1
	v_lshlrev_b32_e32 v1, 29, v4
	v_cmp_gt_i64_e32 vcc, 0, v[0:1]
	v_not_b32_e32 v1, v1
	v_ashrrev_i32_e32 v1, 31, v1
	v_and_b32_e32 v22, v22, v25
	v_xor_b32_e32 v25, vcc_hi, v1
	v_xor_b32_e32 v1, vcc_lo, v1
	v_and_b32_e32 v5, v5, v1
	v_lshlrev_b32_e32 v1, 28, v4
	v_cmp_gt_i64_e32 vcc, 0, v[0:1]
	v_not_b32_e32 v1, v1
	v_ashrrev_i32_e32 v1, 31, v1
	v_and_b32_e32 v22, v22, v25
	;; [unrolled: 8-line block ×5, first 2 shown]
	v_xor_b32_e32 v25, vcc_hi, v1
	v_xor_b32_e32 v1, vcc_lo, v1
	v_and_b32_e32 v22, v22, v25
	v_and_b32_e32 v25, v5, v1
	v_lshlrev_b32_e32 v1, 24, v4
	v_cmp_gt_i64_e32 vcc, 0, v[0:1]
	v_not_b32_e32 v1, v1
	v_ashrrev_i32_e32 v1, 31, v1
	v_xor_b32_e32 v4, vcc_hi, v1
	v_xor_b32_e32 v1, vcc_lo, v1
	; wave barrier
	ds_read_b32 v19, v20 offset:16
	v_and_b32_e32 v5, v22, v4
	v_and_b32_e32 v4, v25, v1
	v_mbcnt_lo_u32_b32 v1, v4, 0
	v_mbcnt_hi_u32_b32 v22, v5, v1
	v_cmp_eq_u32_e32 vcc, 0, v22
	v_cmp_ne_u64_e64 s[0:1], 0, v[4:5]
	s_and_b64 s[4:5], s[0:1], vcc
	; wave barrier
	s_and_saveexec_b64 s[0:1], s[4:5]
	s_cbranch_execz .LBB12_136
; %bb.135:
	v_bcnt_u32_b32 v1, v4, 0
	v_bcnt_u32_b32 v1, v5, v1
	s_waitcnt lgkmcnt(0)
	v_add_u32_e32 v1, v19, v1
	ds_write_b32 v20, v1 offset:16
.LBB12_136:
	s_or_b64 exec, exec, s[0:1]
	s_waitcnt vmcnt(8)
	v_cmp_gt_i16_e32 vcc, 0, v21
	v_cndmask_b32_e64 v1, v24, 0, vcc
	v_xor_b32_e32 v21, v1, v21
	v_cmp_ne_u16_e32 vcc, s2, v21
	v_cndmask_b32_e32 v1, v24, v21, vcc
	v_lshrrev_b32_sdwa v1, s68, v1 dst_sel:DWORD dst_unused:UNUSED_PAD src0_sel:DWORD src1_sel:WORD_0
	v_and_b32_e32 v4, s9, v1
	v_mul_u32_u24_e32 v1, 5, v4
	v_add_lshl_u32 v25, v18, v1, 2
	v_and_b32_e32 v1, 1, v4
	v_add_co_u32_e32 v5, vcc, -1, v1
	v_addc_co_u32_e64 v26, s[0:1], 0, -1, vcc
	v_cmp_ne_u32_e32 vcc, 0, v1
	v_xor_b32_e32 v1, vcc_hi, v26
	v_and_b32_e32 v26, exec_hi, v1
	v_lshlrev_b32_e32 v1, 30, v4
	v_xor_b32_e32 v5, vcc_lo, v5
	v_cmp_gt_i64_e32 vcc, 0, v[0:1]
	v_not_b32_e32 v1, v1
	v_ashrrev_i32_e32 v1, 31, v1
	v_and_b32_e32 v5, exec_lo, v5
	v_xor_b32_e32 v29, vcc_hi, v1
	v_xor_b32_e32 v1, vcc_lo, v1
	v_and_b32_e32 v5, v5, v1
	v_lshlrev_b32_e32 v1, 29, v4
	v_cmp_gt_i64_e32 vcc, 0, v[0:1]
	v_not_b32_e32 v1, v1
	v_ashrrev_i32_e32 v1, 31, v1
	v_and_b32_e32 v26, v26, v29
	v_xor_b32_e32 v29, vcc_hi, v1
	v_xor_b32_e32 v1, vcc_lo, v1
	v_and_b32_e32 v5, v5, v1
	v_lshlrev_b32_e32 v1, 28, v4
	v_cmp_gt_i64_e32 vcc, 0, v[0:1]
	v_not_b32_e32 v1, v1
	v_ashrrev_i32_e32 v1, 31, v1
	v_and_b32_e32 v26, v26, v29
	;; [unrolled: 8-line block ×5, first 2 shown]
	v_xor_b32_e32 v29, vcc_hi, v1
	v_xor_b32_e32 v1, vcc_lo, v1
	v_and_b32_e32 v5, v5, v1
	v_lshlrev_b32_e32 v1, 24, v4
	v_cmp_gt_i64_e32 vcc, 0, v[0:1]
	v_not_b32_e32 v0, v1
	v_ashrrev_i32_e32 v0, 31, v0
	v_xor_b32_e32 v1, vcc_hi, v0
	v_xor_b32_e32 v0, vcc_lo, v0
	; wave barrier
	ds_read_b32 v24, v25 offset:16
	v_and_b32_e32 v26, v26, v29
	v_and_b32_e32 v0, v5, v0
	;; [unrolled: 1-line block ×3, first 2 shown]
	v_mbcnt_lo_u32_b32 v4, v0, 0
	v_mbcnt_hi_u32_b32 v26, v1, v4
	v_cmp_eq_u32_e32 vcc, 0, v26
	v_cmp_ne_u64_e64 s[0:1], 0, v[0:1]
	s_and_b64 s[2:3], s[0:1], vcc
	; wave barrier
	s_and_saveexec_b64 s[0:1], s[2:3]
	s_cbranch_execz .LBB12_138
; %bb.137:
	v_bcnt_u32_b32 v0, v0, 0
	v_bcnt_u32_b32 v0, v1, v0
	s_waitcnt lgkmcnt(0)
	v_add_u32_e32 v0, v24, v0
	ds_write_b32 v25, v0 offset:16
.LBB12_138:
	s_or_b64 exec, exec, s[0:1]
	v_mov_b32_e32 v34, 0x7fff
	s_waitcnt vmcnt(7)
	v_cmp_gt_i16_e32 vcc, 0, v27
	v_cndmask_b32_e64 v1, v34, 0, vcc
	v_xor_b32_e32 v27, v1, v27
	s_movk_i32 s2, 0x8000
	v_cmp_ne_u16_e32 vcc, s2, v27
	v_cndmask_b32_e32 v1, v34, v27, vcc
	v_lshrrev_b32_sdwa v1, s68, v1 dst_sel:DWORD dst_unused:UNUSED_PAD src0_sel:DWORD src1_sel:WORD_0
	v_and_b32_e32 v4, s9, v1
	v_mul_u32_u24_e32 v1, 5, v4
	v_add_lshl_u32 v30, v18, v1, 2
	v_and_b32_e32 v1, 1, v4
	v_add_co_u32_e32 v5, vcc, -1, v1
	v_addc_co_u32_e64 v32, s[0:1], 0, -1, vcc
	v_cmp_ne_u32_e32 vcc, 0, v1
	v_xor_b32_e32 v1, vcc_hi, v32
	v_mov_b32_e32 v0, 0
	v_and_b32_e32 v32, exec_hi, v1
	v_lshlrev_b32_e32 v1, 30, v4
	v_xor_b32_e32 v5, vcc_lo, v5
	v_cmp_gt_i64_e32 vcc, 0, v[0:1]
	v_not_b32_e32 v1, v1
	v_ashrrev_i32_e32 v1, 31, v1
	v_and_b32_e32 v5, exec_lo, v5
	v_xor_b32_e32 v35, vcc_hi, v1
	v_xor_b32_e32 v1, vcc_lo, v1
	v_and_b32_e32 v5, v5, v1
	v_lshlrev_b32_e32 v1, 29, v4
	v_cmp_gt_i64_e32 vcc, 0, v[0:1]
	v_not_b32_e32 v1, v1
	v_ashrrev_i32_e32 v1, 31, v1
	v_and_b32_e32 v32, v32, v35
	v_xor_b32_e32 v35, vcc_hi, v1
	v_xor_b32_e32 v1, vcc_lo, v1
	v_and_b32_e32 v5, v5, v1
	v_lshlrev_b32_e32 v1, 28, v4
	v_cmp_gt_i64_e32 vcc, 0, v[0:1]
	v_not_b32_e32 v1, v1
	v_ashrrev_i32_e32 v1, 31, v1
	v_and_b32_e32 v32, v32, v35
	;; [unrolled: 8-line block ×5, first 2 shown]
	v_xor_b32_e32 v35, vcc_hi, v1
	v_xor_b32_e32 v1, vcc_lo, v1
	v_and_b32_e32 v32, v32, v35
	v_and_b32_e32 v35, v5, v1
	v_lshlrev_b32_e32 v1, 24, v4
	v_cmp_gt_i64_e32 vcc, 0, v[0:1]
	v_not_b32_e32 v1, v1
	v_ashrrev_i32_e32 v1, 31, v1
	v_xor_b32_e32 v4, vcc_hi, v1
	v_xor_b32_e32 v1, vcc_lo, v1
	; wave barrier
	ds_read_b32 v29, v30 offset:16
	v_and_b32_e32 v5, v32, v4
	v_and_b32_e32 v4, v35, v1
	v_mbcnt_lo_u32_b32 v1, v4, 0
	v_mbcnt_hi_u32_b32 v32, v5, v1
	v_cmp_eq_u32_e32 vcc, 0, v32
	v_cmp_ne_u64_e64 s[0:1], 0, v[4:5]
	s_and_b64 s[4:5], s[0:1], vcc
	; wave barrier
	s_and_saveexec_b64 s[0:1], s[4:5]
	s_cbranch_execz .LBB12_140
; %bb.139:
	v_bcnt_u32_b32 v1, v4, 0
	v_bcnt_u32_b32 v1, v5, v1
	s_waitcnt lgkmcnt(0)
	v_add_u32_e32 v1, v29, v1
	ds_write_b32 v30, v1 offset:16
.LBB12_140:
	s_or_b64 exec, exec, s[0:1]
	s_waitcnt vmcnt(6)
	v_cmp_gt_i16_e32 vcc, 0, v31
	v_cndmask_b32_e64 v1, v34, 0, vcc
	v_xor_b32_e32 v31, v1, v31
	v_cmp_ne_u16_e32 vcc, s2, v31
	v_cndmask_b32_e32 v1, v34, v31, vcc
	v_lshrrev_b32_sdwa v1, s68, v1 dst_sel:DWORD dst_unused:UNUSED_PAD src0_sel:DWORD src1_sel:WORD_0
	v_and_b32_e32 v4, s9, v1
	v_mul_u32_u24_e32 v1, 5, v4
	v_add_lshl_u32 v35, v18, v1, 2
	v_and_b32_e32 v1, 1, v4
	v_add_co_u32_e32 v5, vcc, -1, v1
	v_addc_co_u32_e64 v37, s[0:1], 0, -1, vcc
	v_cmp_ne_u32_e32 vcc, 0, v1
	v_xor_b32_e32 v1, vcc_hi, v37
	v_and_b32_e32 v37, exec_hi, v1
	v_lshlrev_b32_e32 v1, 30, v4
	v_xor_b32_e32 v5, vcc_lo, v5
	v_cmp_gt_i64_e32 vcc, 0, v[0:1]
	v_not_b32_e32 v1, v1
	v_ashrrev_i32_e32 v1, 31, v1
	v_and_b32_e32 v5, exec_lo, v5
	v_xor_b32_e32 v39, vcc_hi, v1
	v_xor_b32_e32 v1, vcc_lo, v1
	v_and_b32_e32 v5, v5, v1
	v_lshlrev_b32_e32 v1, 29, v4
	v_cmp_gt_i64_e32 vcc, 0, v[0:1]
	v_not_b32_e32 v1, v1
	v_ashrrev_i32_e32 v1, 31, v1
	v_and_b32_e32 v37, v37, v39
	v_xor_b32_e32 v39, vcc_hi, v1
	v_xor_b32_e32 v1, vcc_lo, v1
	v_and_b32_e32 v5, v5, v1
	v_lshlrev_b32_e32 v1, 28, v4
	v_cmp_gt_i64_e32 vcc, 0, v[0:1]
	v_not_b32_e32 v1, v1
	v_ashrrev_i32_e32 v1, 31, v1
	v_and_b32_e32 v37, v37, v39
	;; [unrolled: 8-line block ×5, first 2 shown]
	v_xor_b32_e32 v39, vcc_hi, v1
	v_xor_b32_e32 v1, vcc_lo, v1
	v_and_b32_e32 v5, v5, v1
	v_lshlrev_b32_e32 v1, 24, v4
	v_cmp_gt_i64_e32 vcc, 0, v[0:1]
	v_not_b32_e32 v0, v1
	v_ashrrev_i32_e32 v0, 31, v0
	v_xor_b32_e32 v1, vcc_hi, v0
	v_xor_b32_e32 v0, vcc_lo, v0
	; wave barrier
	ds_read_b32 v34, v35 offset:16
	v_and_b32_e32 v37, v37, v39
	v_and_b32_e32 v0, v5, v0
	;; [unrolled: 1-line block ×3, first 2 shown]
	v_mbcnt_lo_u32_b32 v4, v0, 0
	v_mbcnt_hi_u32_b32 v37, v1, v4
	v_cmp_eq_u32_e32 vcc, 0, v37
	v_cmp_ne_u64_e64 s[0:1], 0, v[0:1]
	s_and_b64 s[2:3], s[0:1], vcc
	; wave barrier
	s_and_saveexec_b64 s[0:1], s[2:3]
	s_cbranch_execz .LBB12_142
; %bb.141:
	v_bcnt_u32_b32 v0, v0, 0
	v_bcnt_u32_b32 v0, v1, v0
	s_waitcnt lgkmcnt(0)
	v_add_u32_e32 v0, v34, v0
	ds_write_b32 v35, v0 offset:16
.LBB12_142:
	s_or_b64 exec, exec, s[0:1]
	v_mov_b32_e32 v42, 0x7fff
	s_waitcnt vmcnt(5)
	v_cmp_gt_i16_e32 vcc, 0, v36
	v_cndmask_b32_e64 v1, v42, 0, vcc
	v_xor_b32_e32 v36, v1, v36
	s_movk_i32 s2, 0x8000
	v_cmp_ne_u16_e32 vcc, s2, v36
	v_cndmask_b32_e32 v1, v42, v36, vcc
	v_lshrrev_b32_sdwa v1, s68, v1 dst_sel:DWORD dst_unused:UNUSED_PAD src0_sel:DWORD src1_sel:WORD_0
	v_and_b32_e32 v4, s9, v1
	v_mul_u32_u24_e32 v1, 5, v4
	v_add_lshl_u32 v40, v18, v1, 2
	v_and_b32_e32 v1, 1, v4
	v_add_co_u32_e32 v5, vcc, -1, v1
	v_addc_co_u32_e64 v41, s[0:1], 0, -1, vcc
	v_cmp_ne_u32_e32 vcc, 0, v1
	v_xor_b32_e32 v1, vcc_hi, v41
	v_mov_b32_e32 v0, 0
	v_and_b32_e32 v41, exec_hi, v1
	v_lshlrev_b32_e32 v1, 30, v4
	v_xor_b32_e32 v5, vcc_lo, v5
	v_cmp_gt_i64_e32 vcc, 0, v[0:1]
	v_not_b32_e32 v1, v1
	v_ashrrev_i32_e32 v1, 31, v1
	v_and_b32_e32 v5, exec_lo, v5
	v_xor_b32_e32 v43, vcc_hi, v1
	v_xor_b32_e32 v1, vcc_lo, v1
	v_and_b32_e32 v5, v5, v1
	v_lshlrev_b32_e32 v1, 29, v4
	v_cmp_gt_i64_e32 vcc, 0, v[0:1]
	v_not_b32_e32 v1, v1
	v_ashrrev_i32_e32 v1, 31, v1
	v_and_b32_e32 v41, v41, v43
	v_xor_b32_e32 v43, vcc_hi, v1
	v_xor_b32_e32 v1, vcc_lo, v1
	v_and_b32_e32 v5, v5, v1
	v_lshlrev_b32_e32 v1, 28, v4
	v_cmp_gt_i64_e32 vcc, 0, v[0:1]
	v_not_b32_e32 v1, v1
	v_ashrrev_i32_e32 v1, 31, v1
	v_and_b32_e32 v41, v41, v43
	;; [unrolled: 8-line block ×5, first 2 shown]
	v_xor_b32_e32 v43, vcc_hi, v1
	v_xor_b32_e32 v1, vcc_lo, v1
	v_and_b32_e32 v41, v41, v43
	v_and_b32_e32 v43, v5, v1
	v_lshlrev_b32_e32 v1, 24, v4
	v_cmp_gt_i64_e32 vcc, 0, v[0:1]
	v_not_b32_e32 v1, v1
	v_ashrrev_i32_e32 v1, 31, v1
	v_xor_b32_e32 v4, vcc_hi, v1
	v_xor_b32_e32 v1, vcc_lo, v1
	; wave barrier
	ds_read_b32 v39, v40 offset:16
	v_and_b32_e32 v5, v41, v4
	v_and_b32_e32 v4, v43, v1
	v_mbcnt_lo_u32_b32 v1, v4, 0
	v_mbcnt_hi_u32_b32 v41, v5, v1
	v_cmp_eq_u32_e32 vcc, 0, v41
	v_cmp_ne_u64_e64 s[0:1], 0, v[4:5]
	s_and_b64 s[4:5], s[0:1], vcc
	; wave barrier
	s_and_saveexec_b64 s[0:1], s[4:5]
	s_cbranch_execz .LBB12_144
; %bb.143:
	v_bcnt_u32_b32 v1, v4, 0
	v_bcnt_u32_b32 v1, v5, v1
	s_waitcnt lgkmcnt(0)
	v_add_u32_e32 v1, v39, v1
	ds_write_b32 v40, v1 offset:16
.LBB12_144:
	s_or_b64 exec, exec, s[0:1]
	s_waitcnt vmcnt(4)
	v_cmp_gt_i16_e32 vcc, 0, v38
	v_cndmask_b32_e64 v1, v42, 0, vcc
	v_xor_b32_e32 v38, v1, v38
	v_cmp_ne_u16_e32 vcc, s2, v38
	v_cndmask_b32_e32 v1, v42, v38, vcc
	v_lshrrev_b32_sdwa v1, s68, v1 dst_sel:DWORD dst_unused:UNUSED_PAD src0_sel:DWORD src1_sel:WORD_0
	v_and_b32_e32 v4, s9, v1
	v_mul_u32_u24_e32 v1, 5, v4
	v_add_lshl_u32 v43, v18, v1, 2
	v_and_b32_e32 v1, 1, v4
	v_add_co_u32_e32 v5, vcc, -1, v1
	v_addc_co_u32_e64 v44, s[0:1], 0, -1, vcc
	v_cmp_ne_u32_e32 vcc, 0, v1
	v_xor_b32_e32 v1, vcc_hi, v44
	v_and_b32_e32 v44, exec_hi, v1
	v_lshlrev_b32_e32 v1, 30, v4
	v_xor_b32_e32 v5, vcc_lo, v5
	v_cmp_gt_i64_e32 vcc, 0, v[0:1]
	v_not_b32_e32 v1, v1
	v_ashrrev_i32_e32 v1, 31, v1
	v_and_b32_e32 v5, exec_lo, v5
	v_xor_b32_e32 v45, vcc_hi, v1
	v_xor_b32_e32 v1, vcc_lo, v1
	v_and_b32_e32 v5, v5, v1
	v_lshlrev_b32_e32 v1, 29, v4
	v_cmp_gt_i64_e32 vcc, 0, v[0:1]
	v_not_b32_e32 v1, v1
	v_ashrrev_i32_e32 v1, 31, v1
	v_and_b32_e32 v44, v44, v45
	v_xor_b32_e32 v45, vcc_hi, v1
	v_xor_b32_e32 v1, vcc_lo, v1
	v_and_b32_e32 v5, v5, v1
	v_lshlrev_b32_e32 v1, 28, v4
	v_cmp_gt_i64_e32 vcc, 0, v[0:1]
	v_not_b32_e32 v1, v1
	v_ashrrev_i32_e32 v1, 31, v1
	v_and_b32_e32 v44, v44, v45
	;; [unrolled: 8-line block ×5, first 2 shown]
	v_xor_b32_e32 v45, vcc_hi, v1
	v_xor_b32_e32 v1, vcc_lo, v1
	v_and_b32_e32 v5, v5, v1
	v_lshlrev_b32_e32 v1, 24, v4
	v_cmp_gt_i64_e32 vcc, 0, v[0:1]
	v_not_b32_e32 v0, v1
	v_ashrrev_i32_e32 v0, 31, v0
	v_xor_b32_e32 v1, vcc_hi, v0
	v_xor_b32_e32 v0, vcc_lo, v0
	; wave barrier
	ds_read_b32 v42, v43 offset:16
	v_and_b32_e32 v44, v44, v45
	v_and_b32_e32 v0, v5, v0
	;; [unrolled: 1-line block ×3, first 2 shown]
	v_mbcnt_lo_u32_b32 v4, v0, 0
	v_mbcnt_hi_u32_b32 v44, v1, v4
	v_cmp_eq_u32_e32 vcc, 0, v44
	v_cmp_ne_u64_e64 s[0:1], 0, v[0:1]
	s_and_b64 s[2:3], s[0:1], vcc
	; wave barrier
	s_and_saveexec_b64 s[0:1], s[2:3]
	s_cbranch_execz .LBB12_146
; %bb.145:
	v_bcnt_u32_b32 v0, v0, 0
	v_bcnt_u32_b32 v0, v1, v0
	s_waitcnt lgkmcnt(0)
	v_add_u32_e32 v0, v42, v0
	ds_write_b32 v43, v0 offset:16
.LBB12_146:
	s_or_b64 exec, exec, s[0:1]
	v_mov_b32_e32 v49, 0x7fff
	s_waitcnt vmcnt(3)
	v_cmp_gt_i16_e32 vcc, 0, v33
	v_cndmask_b32_e64 v1, v49, 0, vcc
	v_xor_b32_e32 v33, v1, v33
	s_movk_i32 s2, 0x8000
	v_cmp_ne_u16_e32 vcc, s2, v33
	v_cndmask_b32_e32 v1, v49, v33, vcc
	v_lshrrev_b32_sdwa v1, s68, v1 dst_sel:DWORD dst_unused:UNUSED_PAD src0_sel:DWORD src1_sel:WORD_0
	v_and_b32_e32 v4, s9, v1
	v_mul_u32_u24_e32 v1, 5, v4
	v_add_lshl_u32 v46, v18, v1, 2
	v_and_b32_e32 v1, 1, v4
	v_add_co_u32_e32 v5, vcc, -1, v1
	v_addc_co_u32_e64 v47, s[0:1], 0, -1, vcc
	v_cmp_ne_u32_e32 vcc, 0, v1
	v_xor_b32_e32 v1, vcc_hi, v47
	v_mov_b32_e32 v0, 0
	v_and_b32_e32 v47, exec_hi, v1
	v_lshlrev_b32_e32 v1, 30, v4
	v_xor_b32_e32 v5, vcc_lo, v5
	v_cmp_gt_i64_e32 vcc, 0, v[0:1]
	v_not_b32_e32 v1, v1
	v_ashrrev_i32_e32 v1, 31, v1
	v_and_b32_e32 v5, exec_lo, v5
	v_xor_b32_e32 v48, vcc_hi, v1
	v_xor_b32_e32 v1, vcc_lo, v1
	v_and_b32_e32 v5, v5, v1
	v_lshlrev_b32_e32 v1, 29, v4
	v_cmp_gt_i64_e32 vcc, 0, v[0:1]
	v_not_b32_e32 v1, v1
	v_ashrrev_i32_e32 v1, 31, v1
	v_and_b32_e32 v47, v47, v48
	v_xor_b32_e32 v48, vcc_hi, v1
	v_xor_b32_e32 v1, vcc_lo, v1
	v_and_b32_e32 v5, v5, v1
	v_lshlrev_b32_e32 v1, 28, v4
	v_cmp_gt_i64_e32 vcc, 0, v[0:1]
	v_not_b32_e32 v1, v1
	v_ashrrev_i32_e32 v1, 31, v1
	v_and_b32_e32 v47, v47, v48
	;; [unrolled: 8-line block ×5, first 2 shown]
	v_xor_b32_e32 v48, vcc_hi, v1
	v_xor_b32_e32 v1, vcc_lo, v1
	v_and_b32_e32 v47, v47, v48
	v_and_b32_e32 v48, v5, v1
	v_lshlrev_b32_e32 v1, 24, v4
	v_cmp_gt_i64_e32 vcc, 0, v[0:1]
	v_not_b32_e32 v1, v1
	v_ashrrev_i32_e32 v1, 31, v1
	v_xor_b32_e32 v4, vcc_hi, v1
	v_xor_b32_e32 v1, vcc_lo, v1
	; wave barrier
	ds_read_b32 v45, v46 offset:16
	v_and_b32_e32 v5, v47, v4
	v_and_b32_e32 v4, v48, v1
	v_mbcnt_lo_u32_b32 v1, v4, 0
	v_mbcnt_hi_u32_b32 v48, v5, v1
	v_cmp_eq_u32_e32 vcc, 0, v48
	v_cmp_ne_u64_e64 s[0:1], 0, v[4:5]
	s_and_b64 s[4:5], s[0:1], vcc
	; wave barrier
	s_and_saveexec_b64 s[0:1], s[4:5]
	s_cbranch_execz .LBB12_148
; %bb.147:
	v_bcnt_u32_b32 v1, v4, 0
	v_bcnt_u32_b32 v1, v5, v1
	s_waitcnt lgkmcnt(0)
	v_add_u32_e32 v1, v45, v1
	ds_write_b32 v46, v1 offset:16
.LBB12_148:
	s_or_b64 exec, exec, s[0:1]
	s_waitcnt vmcnt(2)
	v_cmp_gt_i16_e32 vcc, 0, v28
	v_cndmask_b32_e64 v1, v49, 0, vcc
	v_xor_b32_e32 v47, v1, v28
	v_cmp_ne_u16_e32 vcc, s2, v47
	v_cndmask_b32_e32 v1, v49, v47, vcc
	v_lshrrev_b32_sdwa v1, s68, v1 dst_sel:DWORD dst_unused:UNUSED_PAD src0_sel:DWORD src1_sel:WORD_0
	v_and_b32_e32 v4, s9, v1
	v_mul_u32_u24_e32 v1, 5, v4
	v_add_lshl_u32 v28, v18, v1, 2
	v_and_b32_e32 v1, 1, v4
	v_add_co_u32_e32 v5, vcc, -1, v1
	v_addc_co_u32_e64 v50, s[0:1], 0, -1, vcc
	v_cmp_ne_u32_e32 vcc, 0, v1
	v_xor_b32_e32 v1, vcc_hi, v50
	v_and_b32_e32 v50, exec_hi, v1
	v_lshlrev_b32_e32 v1, 30, v4
	v_xor_b32_e32 v5, vcc_lo, v5
	v_cmp_gt_i64_e32 vcc, 0, v[0:1]
	v_not_b32_e32 v1, v1
	v_ashrrev_i32_e32 v1, 31, v1
	v_and_b32_e32 v5, exec_lo, v5
	v_xor_b32_e32 v51, vcc_hi, v1
	v_xor_b32_e32 v1, vcc_lo, v1
	v_and_b32_e32 v5, v5, v1
	v_lshlrev_b32_e32 v1, 29, v4
	v_cmp_gt_i64_e32 vcc, 0, v[0:1]
	v_not_b32_e32 v1, v1
	v_ashrrev_i32_e32 v1, 31, v1
	v_and_b32_e32 v50, v50, v51
	v_xor_b32_e32 v51, vcc_hi, v1
	v_xor_b32_e32 v1, vcc_lo, v1
	v_and_b32_e32 v5, v5, v1
	v_lshlrev_b32_e32 v1, 28, v4
	v_cmp_gt_i64_e32 vcc, 0, v[0:1]
	v_not_b32_e32 v1, v1
	v_ashrrev_i32_e32 v1, 31, v1
	v_and_b32_e32 v50, v50, v51
	;; [unrolled: 8-line block ×5, first 2 shown]
	v_xor_b32_e32 v51, vcc_hi, v1
	v_xor_b32_e32 v1, vcc_lo, v1
	v_and_b32_e32 v5, v5, v1
	v_lshlrev_b32_e32 v1, 24, v4
	v_cmp_gt_i64_e32 vcc, 0, v[0:1]
	v_not_b32_e32 v0, v1
	v_ashrrev_i32_e32 v0, 31, v0
	v_xor_b32_e32 v1, vcc_hi, v0
	v_xor_b32_e32 v0, vcc_lo, v0
	; wave barrier
	ds_read_b32 v49, v28 offset:16
	v_and_b32_e32 v50, v50, v51
	v_and_b32_e32 v0, v5, v0
	;; [unrolled: 1-line block ×3, first 2 shown]
	v_mbcnt_lo_u32_b32 v4, v0, 0
	v_mbcnt_hi_u32_b32 v51, v1, v4
	v_cmp_eq_u32_e32 vcc, 0, v51
	v_cmp_ne_u64_e64 s[0:1], 0, v[0:1]
	s_and_b64 s[2:3], s[0:1], vcc
	; wave barrier
	s_and_saveexec_b64 s[0:1], s[2:3]
	s_cbranch_execz .LBB12_150
; %bb.149:
	v_bcnt_u32_b32 v0, v0, 0
	v_bcnt_u32_b32 v0, v1, v0
	s_waitcnt lgkmcnt(0)
	v_add_u32_e32 v0, v49, v0
	ds_write_b32 v28, v0 offset:16
.LBB12_150:
	s_or_b64 exec, exec, s[0:1]
	v_mov_b32_e32 v55, 0x7fff
	s_waitcnt vmcnt(1)
	v_cmp_gt_i16_e32 vcc, 0, v23
	v_cndmask_b32_e64 v1, v55, 0, vcc
	v_xor_b32_e32 v50, v1, v23
	s_movk_i32 s2, 0x8000
	v_cmp_ne_u16_e32 vcc, s2, v50
	v_cndmask_b32_e32 v1, v55, v50, vcc
	v_lshrrev_b32_sdwa v1, s68, v1 dst_sel:DWORD dst_unused:UNUSED_PAD src0_sel:DWORD src1_sel:WORD_0
	v_and_b32_e32 v4, s9, v1
	v_mul_u32_u24_e32 v1, 5, v4
	v_add_lshl_u32 v23, v1, v18, 2
	v_and_b32_e32 v1, 1, v4
	v_add_co_u32_e32 v5, vcc, -1, v1
	v_addc_co_u32_e64 v53, s[0:1], 0, -1, vcc
	v_cmp_ne_u32_e32 vcc, 0, v1
	v_xor_b32_e32 v1, vcc_hi, v53
	v_mov_b32_e32 v0, 0
	v_and_b32_e32 v53, exec_hi, v1
	v_lshlrev_b32_e32 v1, 30, v4
	v_xor_b32_e32 v5, vcc_lo, v5
	v_cmp_gt_i64_e32 vcc, 0, v[0:1]
	v_not_b32_e32 v1, v1
	v_ashrrev_i32_e32 v1, 31, v1
	v_and_b32_e32 v5, exec_lo, v5
	v_xor_b32_e32 v54, vcc_hi, v1
	v_xor_b32_e32 v1, vcc_lo, v1
	v_and_b32_e32 v5, v5, v1
	v_lshlrev_b32_e32 v1, 29, v4
	v_cmp_gt_i64_e32 vcc, 0, v[0:1]
	v_not_b32_e32 v1, v1
	v_ashrrev_i32_e32 v1, 31, v1
	v_and_b32_e32 v53, v53, v54
	v_xor_b32_e32 v54, vcc_hi, v1
	v_xor_b32_e32 v1, vcc_lo, v1
	v_and_b32_e32 v5, v5, v1
	v_lshlrev_b32_e32 v1, 28, v4
	v_cmp_gt_i64_e32 vcc, 0, v[0:1]
	v_not_b32_e32 v1, v1
	v_ashrrev_i32_e32 v1, 31, v1
	v_and_b32_e32 v53, v53, v54
	;; [unrolled: 8-line block ×5, first 2 shown]
	v_xor_b32_e32 v54, vcc_hi, v1
	v_xor_b32_e32 v1, vcc_lo, v1
	v_and_b32_e32 v53, v53, v54
	v_and_b32_e32 v54, v5, v1
	v_lshlrev_b32_e32 v1, 24, v4
	v_cmp_gt_i64_e32 vcc, 0, v[0:1]
	v_not_b32_e32 v1, v1
	v_ashrrev_i32_e32 v1, 31, v1
	v_xor_b32_e32 v4, vcc_hi, v1
	v_xor_b32_e32 v1, vcc_lo, v1
	; wave barrier
	ds_read_b32 v52, v23 offset:16
	v_and_b32_e32 v5, v53, v4
	v_and_b32_e32 v4, v54, v1
	v_mbcnt_lo_u32_b32 v1, v4, 0
	v_mbcnt_hi_u32_b32 v54, v5, v1
	v_cmp_eq_u32_e32 vcc, 0, v54
	v_cmp_ne_u64_e64 s[0:1], 0, v[4:5]
	s_and_b64 s[4:5], s[0:1], vcc
	; wave barrier
	s_and_saveexec_b64 s[0:1], s[4:5]
	s_cbranch_execz .LBB12_152
; %bb.151:
	v_bcnt_u32_b32 v1, v4, 0
	v_bcnt_u32_b32 v1, v5, v1
	s_waitcnt lgkmcnt(0)
	v_add_u32_e32 v1, v52, v1
	ds_write_b32 v23, v1 offset:16
.LBB12_152:
	s_or_b64 exec, exec, s[0:1]
	s_waitcnt vmcnt(0)
	v_cmp_gt_i16_e32 vcc, 0, v17
	v_cndmask_b32_e64 v1, v55, 0, vcc
	v_xor_b32_e32 v53, v1, v17
	v_cmp_ne_u16_e32 vcc, s2, v53
	v_cndmask_b32_e32 v1, v55, v53, vcc
	v_lshrrev_b32_sdwa v1, s68, v1 dst_sel:DWORD dst_unused:UNUSED_PAD src0_sel:DWORD src1_sel:WORD_0
	v_and_b32_e32 v4, s9, v1
	v_mul_u32_u24_e32 v1, 5, v4
	v_add_lshl_u32 v17, v1, v18, 2
	v_and_b32_e32 v1, 1, v4
	v_add_co_u32_e32 v5, vcc, -1, v1
	v_addc_co_u32_e64 v18, s[0:1], 0, -1, vcc
	v_cmp_ne_u32_e32 vcc, 0, v1
	v_xor_b32_e32 v1, vcc_hi, v18
	v_and_b32_e32 v18, exec_hi, v1
	v_lshlrev_b32_e32 v1, 30, v4
	v_xor_b32_e32 v5, vcc_lo, v5
	v_cmp_gt_i64_e32 vcc, 0, v[0:1]
	v_not_b32_e32 v1, v1
	v_ashrrev_i32_e32 v1, 31, v1
	v_and_b32_e32 v5, exec_lo, v5
	v_xor_b32_e32 v57, vcc_hi, v1
	v_xor_b32_e32 v1, vcc_lo, v1
	v_and_b32_e32 v5, v5, v1
	v_lshlrev_b32_e32 v1, 29, v4
	v_cmp_gt_i64_e32 vcc, 0, v[0:1]
	v_not_b32_e32 v1, v1
	v_ashrrev_i32_e32 v1, 31, v1
	v_and_b32_e32 v18, v18, v57
	v_xor_b32_e32 v57, vcc_hi, v1
	v_xor_b32_e32 v1, vcc_lo, v1
	v_and_b32_e32 v5, v5, v1
	v_lshlrev_b32_e32 v1, 28, v4
	v_cmp_gt_i64_e32 vcc, 0, v[0:1]
	v_not_b32_e32 v1, v1
	v_ashrrev_i32_e32 v1, 31, v1
	v_and_b32_e32 v18, v18, v57
	;; [unrolled: 8-line block ×5, first 2 shown]
	v_xor_b32_e32 v57, vcc_hi, v1
	v_xor_b32_e32 v1, vcc_lo, v1
	v_and_b32_e32 v5, v5, v1
	v_lshlrev_b32_e32 v1, 24, v4
	v_cmp_gt_i64_e32 vcc, 0, v[0:1]
	v_not_b32_e32 v0, v1
	v_ashrrev_i32_e32 v0, 31, v0
	v_xor_b32_e32 v1, vcc_hi, v0
	v_xor_b32_e32 v0, vcc_lo, v0
	; wave barrier
	ds_read_b32 v55, v17 offset:16
	v_and_b32_e32 v18, v18, v57
	v_and_b32_e32 v0, v5, v0
	;; [unrolled: 1-line block ×3, first 2 shown]
	v_mbcnt_lo_u32_b32 v4, v0, 0
	v_mbcnt_hi_u32_b32 v57, v1, v4
	v_cmp_eq_u32_e32 vcc, 0, v57
	v_cmp_ne_u64_e64 s[0:1], 0, v[0:1]
	v_add_u32_e32 v56, 16, v6
	s_and_b64 s[2:3], s[0:1], vcc
	; wave barrier
	s_and_saveexec_b64 s[0:1], s[2:3]
	s_cbranch_execz .LBB12_154
; %bb.153:
	v_bcnt_u32_b32 v0, v0, 0
	v_bcnt_u32_b32 v0, v1, v0
	s_waitcnt lgkmcnt(0)
	v_add_u32_e32 v0, v55, v0
	ds_write_b32 v17, v0 offset:16
.LBB12_154:
	s_or_b64 exec, exec, s[0:1]
	; wave barrier
	s_waitcnt lgkmcnt(0)
	s_barrier
	ds_read2_b32 v[4:5], v6 offset0:4 offset1:5
	ds_read2_b32 v[0:1], v56 offset0:2 offset1:3
	ds_read_b32 v18, v56 offset:16
	v_min_u32_e32 v7, 0xc0, v7
	v_or_b32_e32 v7, 63, v7
	s_waitcnt lgkmcnt(1)
	v_add3_u32 v58, v5, v4, v0
	s_waitcnt lgkmcnt(0)
	v_add3_u32 v18, v58, v1, v18
	v_and_b32_e32 v58, 15, v11
	v_cmp_ne_u32_e32 vcc, 0, v58
	v_mov_b32_dpp v59, v18 row_shr:1 row_mask:0xf bank_mask:0xf
	v_cndmask_b32_e32 v59, 0, v59, vcc
	v_add_u32_e32 v18, v59, v18
	v_cmp_lt_u32_e32 vcc, 1, v58
	s_nop 0
	v_mov_b32_dpp v59, v18 row_shr:2 row_mask:0xf bank_mask:0xf
	v_cndmask_b32_e32 v59, 0, v59, vcc
	v_add_u32_e32 v18, v18, v59
	v_cmp_lt_u32_e32 vcc, 3, v58
	s_nop 0
	;; [unrolled: 5-line block ×3, first 2 shown]
	v_mov_b32_dpp v59, v18 row_shr:8 row_mask:0xf bank_mask:0xf
	v_cndmask_b32_e32 v58, 0, v59, vcc
	v_add_u32_e32 v18, v18, v58
	v_bfe_i32 v59, v11, 4, 1
	v_cmp_lt_u32_e32 vcc, 31, v11
	v_mov_b32_dpp v58, v18 row_bcast:15 row_mask:0xf bank_mask:0xf
	v_and_b32_e32 v58, v59, v58
	v_add_u32_e32 v18, v18, v58
	s_nop 1
	v_mov_b32_dpp v58, v18 row_bcast:31 row_mask:0xf bank_mask:0xf
	v_cndmask_b32_e32 v58, 0, v58, vcc
	v_add_u32_e32 v18, v18, v58
	v_lshrrev_b32_e32 v58, 6, v2
	v_cmp_eq_u32_e32 vcc, v7, v2
	s_and_saveexec_b64 s[0:1], vcc
	s_cbranch_execz .LBB12_156
; %bb.155:
	v_lshlrev_b32_e32 v7, 2, v58
	ds_write_b32 v7, v18
.LBB12_156:
	s_or_b64 exec, exec, s[0:1]
	v_cmp_gt_u32_e32 vcc, 4, v2
	s_waitcnt lgkmcnt(0)
	s_barrier
	s_and_saveexec_b64 s[0:1], vcc
	s_cbranch_execz .LBB12_158
; %bb.157:
	v_lshlrev_b32_e32 v7, 2, v2
	ds_read_b32 v59, v7
	v_and_b32_e32 v60, 3, v11
	v_cmp_ne_u32_e32 vcc, 0, v60
	s_waitcnt lgkmcnt(0)
	v_mov_b32_dpp v61, v59 row_shr:1 row_mask:0xf bank_mask:0xf
	v_cndmask_b32_e32 v61, 0, v61, vcc
	v_add_u32_e32 v59, v61, v59
	v_cmp_lt_u32_e32 vcc, 1, v60
	s_nop 0
	v_mov_b32_dpp v61, v59 row_shr:2 row_mask:0xf bank_mask:0xf
	v_cndmask_b32_e32 v60, 0, v61, vcc
	v_add_u32_e32 v59, v59, v60
	ds_write_b32 v7, v59
.LBB12_158:
	s_or_b64 exec, exec, s[0:1]
	v_cmp_lt_u32_e32 vcc, 63, v2
	v_mov_b32_e32 v7, 0
	s_waitcnt lgkmcnt(0)
	s_barrier
	s_and_saveexec_b64 s[0:1], vcc
	s_cbranch_execz .LBB12_160
; %bb.159:
	v_lshl_add_u32 v7, v58, 2, -4
	ds_read_b32 v7, v7
.LBB12_160:
	s_or_b64 exec, exec, s[0:1]
	v_add_u32_e32 v58, -1, v11
	v_and_b32_e32 v59, 64, v11
	v_cmp_lt_i32_e32 vcc, v58, v59
	v_cndmask_b32_e32 v58, v58, v11, vcc
	s_waitcnt lgkmcnt(0)
	v_add_u32_e32 v18, v7, v18
	v_lshlrev_b32_e32 v58, 2, v58
	ds_bpermute_b32 v18, v58, v18
	v_cmp_eq_u32_e32 vcc, 0, v11
	s_movk_i32 s0, 0x100
	s_waitcnt lgkmcnt(0)
	v_cndmask_b32_e32 v7, v18, v7, vcc
	v_cmp_ne_u32_e32 vcc, 0, v2
	v_cndmask_b32_e32 v7, 0, v7, vcc
	v_add_u32_e32 v4, v7, v4
	v_add_u32_e32 v5, v4, v5
	;; [unrolled: 1-line block ×4, first 2 shown]
	ds_write2_b32 v6, v7, v4 offset0:4 offset1:5
	ds_write2_b32 v56, v5, v0 offset0:2 offset1:3
	ds_write_b32 v56, v1 offset:16
	s_waitcnt lgkmcnt(0)
	s_barrier
	ds_read_b32 v1, v14 offset:16
	ds_read_b32 v5, v20 offset:16
	ds_read_b32 v7, v25 offset:16
	ds_read_b32 v14, v30 offset:16
	ds_read_b32 v18, v35 offset:16
	ds_read_b32 v35, v40 offset:16
	ds_read_b32 v40, v43 offset:16
	ds_read_b32 v43, v46 offset:16
	ds_read_b32 v46, v28 offset:16
	ds_read_b32 v56, v23 offset:16
	ds_read_b32 v58, v17 offset:16
	ds_read_b32 v8, v8 offset:16
	ds_read_b32 v4, v6 offset:16
	v_add_u32_e32 v6, 1, v2
	v_cmp_ne_u32_e32 vcc, s0, v6
	v_mov_b32_e32 v0, 0xc00
	s_and_saveexec_b64 s[0:1], vcc
	s_cbranch_execz .LBB12_162
; %bb.161:
	v_mul_u32_u24_e32 v0, 5, v6
	v_lshlrev_b32_e32 v0, 2, v0
	ds_read_b32 v0, v0 offset:16
.LBB12_162:
	s_or_b64 exec, exec, s[0:1]
	s_waitcnt lgkmcnt(1)
	v_add_u32_e32 v30, v8, v9
	v_add3_u32 v28, v15, v13, v1
	v_lshlrev_b32_e32 v1, 1, v30
	v_add3_u32 v25, v22, v19, v5
	s_waitcnt lgkmcnt(0)
	s_barrier
	ds_write_b16 v1, v3 offset:2048
	v_lshlrev_b32_e32 v1, 1, v28
	v_add3_u32 v23, v26, v24, v7
	ds_write_b16 v1, v12 offset:2048
	v_lshlrev_b32_e32 v1, 1, v25
	v_add3_u32 v22, v32, v29, v14
	ds_write_b16 v1, v16 offset:2048
	v_lshlrev_b32_e32 v1, 1, v23
	v_add3_u32 v20, v37, v34, v18
	ds_write_b16 v1, v21 offset:2048
	v_lshlrev_b32_e32 v1, 1, v22
	v_add3_u32 v19, v41, v39, v35
	ds_write_b16 v1, v27 offset:2048
	v_lshlrev_b32_e32 v1, 1, v20
	v_add3_u32 v18, v44, v42, v40
	ds_write_b16 v1, v31 offset:2048
	v_lshlrev_b32_e32 v1, 1, v19
	v_add3_u32 v17, v48, v45, v43
	ds_write_b16 v1, v36 offset:2048
	v_lshlrev_b32_e32 v1, 1, v18
	v_add3_u32 v15, v51, v49, v46
	ds_write_b16 v1, v38 offset:2048
	v_lshlrev_b32_e32 v1, 1, v17
	v_add3_u32 v14, v54, v52, v56
	ds_write_b16 v1, v33 offset:2048
	v_lshlrev_b32_e32 v1, 1, v15
	v_add3_u32 v13, v57, v55, v58
	ds_write_b16 v1, v47 offset:2048
	v_lshlrev_b32_e32 v1, 1, v14
	ds_write_b16 v1, v50 offset:2048
	v_lshlrev_b32_e32 v1, 1, v13
	ds_write_b16 v1, v53 offset:2048
	v_sub_u32_e32 v32, v0, v4
	v_lshl_add_u32 v0, s6, 8, v2
	v_mov_b32_e32 v1, 0
	v_lshlrev_b64 v[6:7], 2, v[0:1]
	v_mov_b32_e32 v3, s73
	v_add_co_u32_e32 v6, vcc, s72, v6
	v_addc_co_u32_e32 v7, vcc, v3, v7, vcc
	v_or_b32_e32 v0, 2.0, v32
	s_mov_b64 s[0:1], 0
	s_brev_b32 s10, 1
	v_mov_b32_e32 v5, 0
	s_waitcnt lgkmcnt(0)
	s_barrier
	global_store_dword v[6:7], v0, off
                                        ; implicit-def: $sgpr2_sgpr3
	s_branch .LBB12_165
.LBB12_163:                             ;   in Loop: Header=BB12_165 Depth=1
	s_or_b64 exec, exec, s[4:5]
.LBB12_164:                             ;   in Loop: Header=BB12_165 Depth=1
	s_or_b64 exec, exec, s[2:3]
	v_and_b32_e32 v8, 0x3fffffff, v12
	v_add_u32_e32 v5, v8, v5
	v_cmp_eq_u32_e64 s[2:3], s10, v0
	s_and_b64 s[4:5], exec, s[2:3]
	s_or_b64 s[0:1], s[4:5], s[0:1]
	s_andn2_b64 exec, exec, s[0:1]
	s_cbranch_execz .LBB12_170
.LBB12_165:                             ; =>This Loop Header: Depth=1
                                        ;     Child Loop BB12_168 Depth 2
	s_or_b64 s[2:3], s[2:3], exec
	s_cmp_eq_u32 s7, 0
	s_cbranch_scc1 .LBB12_169
; %bb.166:                              ;   in Loop: Header=BB12_165 Depth=1
	s_add_i32 s7, s7, -1
	v_lshl_add_u32 v0, s7, 8, v2
	v_lshlrev_b64 v[8:9], 2, v[0:1]
	v_add_co_u32_e32 v8, vcc, s72, v8
	v_addc_co_u32_e32 v9, vcc, v3, v9, vcc
	global_load_dword v12, v[8:9], off glc
	s_waitcnt vmcnt(0)
	v_and_b32_e32 v0, -2.0, v12
	v_cmp_eq_u32_e32 vcc, 0, v0
	s_and_saveexec_b64 s[2:3], vcc
	s_cbranch_execz .LBB12_164
; %bb.167:                              ;   in Loop: Header=BB12_165 Depth=1
	s_mov_b64 s[4:5], 0
.LBB12_168:                             ;   Parent Loop BB12_165 Depth=1
                                        ; =>  This Inner Loop Header: Depth=2
	global_load_dword v12, v[8:9], off glc
	s_waitcnt vmcnt(0)
	v_and_b32_e32 v0, -2.0, v12
	v_cmp_ne_u32_e32 vcc, 0, v0
	s_or_b64 s[4:5], vcc, s[4:5]
	s_andn2_b64 exec, exec, s[4:5]
	s_cbranch_execnz .LBB12_168
	s_branch .LBB12_163
.LBB12_169:                             ;   in Loop: Header=BB12_165 Depth=1
                                        ; implicit-def: $sgpr7
	s_and_b64 s[4:5], exec, s[2:3]
	s_or_b64 s[0:1], s[4:5], s[0:1]
	s_andn2_b64 exec, exec, s[0:1]
	s_cbranch_execnz .LBB12_165
.LBB12_170:
	s_or_b64 exec, exec, s[0:1]
	v_add_u32_e32 v0, v5, v32
	v_or_b32_e32 v0, 0x80000000, v0
	global_store_dword v[6:7], v0, off
	v_lshlrev_b32_e32 v33, 3, v2
	global_load_dwordx2 v[0:1], v33, s[64:65]
	v_sub_co_u32_e32 v6, vcc, v5, v4
	v_subb_co_u32_e64 v7, s[0:1], 0, 0, vcc
	s_movk_i32 s0, 0x8000
	v_mad_i32_i24 v9, v2, -6, v33
	v_mov_b32_e32 v12, 0x7fff
	v_lshlrev_b32_e32 v16, 1, v2
	v_mov_b32_e32 v8, s59
	v_mov_b32_e32 v21, s59
	;; [unrolled: 1-line block ×3, first 2 shown]
	s_lshl_b64 s[2:3], s[54:55], 3
	s_add_u32 s1, s60, s2
	s_addc_u32 s2, s61, s3
	v_mov_b32_e32 v66, s59
	s_add_i32 s8, s8, -1
	v_mov_b32_e32 v3, 0
	s_cmp_eq_u32 s6, s8
	v_mov_b32_e32 v5, v3
	s_waitcnt vmcnt(0)
	v_add_co_u32_e32 v0, vcc, v6, v0
	v_addc_co_u32_e32 v1, vcc, v7, v1, vcc
	ds_write_b64 v33, v[0:1]
	s_waitcnt lgkmcnt(0)
	s_barrier
	ds_read_u16 v0, v9 offset:2048
	ds_read_u16 v1, v16 offset:2560
	;; [unrolled: 1-line block ×7, first 2 shown]
	s_waitcnt lgkmcnt(6)
	v_cmp_ne_u16_e32 vcc, s0, v0
	v_cndmask_b32_e32 v7, v12, v0, vcc
	v_cmp_gt_i16_e32 vcc, 0, v0
	v_cndmask_b32_e64 v9, v12, 0, vcc
	s_waitcnt lgkmcnt(5)
	v_cmp_ne_u16_e32 vcc, s0, v1
	v_cndmask_b32_e32 v26, v12, v1, vcc
	v_cmp_gt_i16_e32 vcc, 0, v1
	v_cndmask_b32_e64 v27, v12, 0, vcc
	;; [unrolled: 5-line block ×3, first 2 shown]
	v_lshrrev_b32_sdwa v7, s68, v7 dst_sel:DWORD dst_unused:UNUSED_PAD src0_sel:DWORD src1_sel:WORD_0
	v_xor_b32_e32 v9, v9, v0
	v_lshrrev_b32_sdwa v0, s68, v26 dst_sel:DWORD dst_unused:UNUSED_PAD src0_sel:DWORD src1_sel:WORD_0
	v_xor_b32_e32 v37, v27, v1
	;; [unrolled: 2-line block ×3, first 2 shown]
	v_and_b32_e32 v6, s9, v7
	v_and_b32_e32 v0, s9, v0
	;; [unrolled: 1-line block ×3, first 2 shown]
	v_lshlrev_b32_e32 v55, 3, v6
	v_lshlrev_b32_e32 v56, 3, v0
	;; [unrolled: 1-line block ×3, first 2 shown]
	ds_read_b64 v[0:1], v55
	ds_read_u16 v6, v16 offset:3072
	ds_read_u16 v36, v16 offset:4096
	ds_read_u16 v38, v16 offset:5120
	ds_read_u16 v39, v16 offset:6144
	ds_read_u16 v58, v16 offset:7168
	s_waitcnt lgkmcnt(4)
	v_cmp_ne_u16_e32 vcc, s0, v6
	v_cndmask_b32_e32 v7, v12, v6, vcc
	v_cmp_gt_i16_e32 vcc, 0, v6
	v_lshlrev_b64 v[0:1], 1, v[0:1]
	v_cndmask_b32_e64 v26, v12, 0, vcc
	s_waitcnt lgkmcnt(3)
	v_cmp_ne_u16_e32 vcc, s0, v36
	v_cndmask_b32_e32 v27, v12, v36, vcc
	v_add_co_u32_e32 v0, vcc, s58, v0
	v_addc_co_u32_e32 v1, vcc, v8, v1, vcc
	v_add_co_u32_e32 v0, vcc, v0, v16
	v_addc_co_u32_e32 v1, vcc, 0, v1, vcc
	global_store_short v[0:1], v9, off
	ds_read_b64 v[0:1], v56
	v_lshrrev_b32_sdwa v7, s68, v7 dst_sel:DWORD dst_unused:UNUSED_PAD src0_sel:DWORD src1_sel:WORD_0
	v_xor_b32_e32 v40, v26, v6
	v_lshrrev_b32_sdwa v6, s68, v27 dst_sel:DWORD dst_unused:UNUSED_PAD src0_sel:DWORD src1_sel:WORD_0
	v_and_b32_e32 v7, s9, v7
	s_waitcnt lgkmcnt(0)
	v_lshlrev_b64 v[0:1], 1, v[0:1]
	v_and_b32_e32 v6, s9, v6
	v_lshlrev_b32_e32 v59, 3, v7
	v_add_co_u32_e32 v0, vcc, s58, v0
	v_lshlrev_b32_e32 v60, 3, v6
	ds_read_b64 v[6:7], v59
	ds_read_b64 v[8:9], v57
	;; [unrolled: 1-line block ×3, first 2 shown]
	v_addc_co_u32_e32 v1, vcc, v21, v1, vcc
	v_add_co_u32_e32 v0, vcc, v0, v16
	v_addc_co_u32_e32 v1, vcc, 0, v1, vcc
	global_store_short v[0:1], v37, off offset:512
	s_waitcnt lgkmcnt(2)
	v_lshlrev_b64 v[0:1], 1, v[6:7]
	v_add_co_u32_e32 v0, vcc, s58, v0
	v_addc_co_u32_e32 v1, vcc, v24, v1, vcc
	v_add_co_u32_e32 v0, vcc, v0, v16
	s_waitcnt lgkmcnt(1)
	v_lshlrev_b64 v[6:7], 1, v[8:9]
	v_addc_co_u32_e32 v1, vcc, 0, v1, vcc
	global_store_short v[0:1], v40, off offset:1024
	v_mov_b32_e32 v0, s59
	v_add_co_u32_e32 v1, vcc, s58, v6
	v_addc_co_u32_e32 v6, vcc, v0, v7, vcc
	v_add_co_u32_e32 v0, vcc, v1, v16
	v_addc_co_u32_e32 v1, vcc, 0, v6, vcc
	v_cmp_gt_i16_e32 vcc, 0, v36
	global_store_short v[0:1], v35, off offset:1536
	v_cndmask_b32_e64 v0, v12, 0, vcc
	v_xor_b32_e32 v6, v0, v36
	s_waitcnt lgkmcnt(0)
	v_lshlrev_b64 v[0:1], 1, v[26:27]
	v_mov_b32_e32 v7, s59
	v_add_co_u32_e32 v0, vcc, s58, v0
	v_addc_co_u32_e32 v1, vcc, v7, v1, vcc
	v_add_co_u32_e32 v0, vcc, v0, v16
	v_addc_co_u32_e32 v1, vcc, 0, v1, vcc
	v_cmp_ne_u16_e32 vcc, s0, v29
	global_store_short v[0:1], v6, off offset:2048
	v_cndmask_b32_e32 v0, v12, v29, vcc
	v_lshrrev_b32_sdwa v0, s68, v0 dst_sel:DWORD dst_unused:UNUSED_PAD src0_sel:DWORD src1_sel:WORD_0
	v_cmp_gt_i16_e32 vcc, 0, v29
	v_and_b32_e32 v0, s9, v0
	v_cndmask_b32_e64 v1, v12, 0, vcc
	v_cmp_ne_u16_e32 vcc, s0, v38
	v_lshlrev_b32_e32 v24, 3, v0
	v_cndmask_b32_e32 v0, v12, v38, vcc
	v_lshrrev_b32_sdwa v0, s68, v0 dst_sel:DWORD dst_unused:UNUSED_PAD src0_sel:DWORD src1_sel:WORD_0
	v_and_b32_e32 v0, s9, v0
	v_cmp_ne_u16_e32 vcc, s0, v31
	v_xor_b32_e32 v21, v1, v29
	v_lshlrev_b32_e32 v29, 3, v0
	v_cndmask_b32_e32 v0, v12, v31, vcc
	v_lshrrev_b32_sdwa v0, s68, v0 dst_sel:DWORD dst_unused:UNUSED_PAD src0_sel:DWORD src1_sel:WORD_0
	v_and_b32_e32 v0, s9, v0
	v_cmp_ne_u16_e32 vcc, s0, v39
	v_lshlrev_b32_e32 v61, 3, v0
	v_cndmask_b32_e32 v0, v12, v39, vcc
	v_lshrrev_b32_sdwa v0, s68, v0 dst_sel:DWORD dst_unused:UNUSED_PAD src0_sel:DWORD src1_sel:WORD_0
	v_and_b32_e32 v6, s9, v0
	ds_read_b64 v[0:1], v24
	v_mov_b32_e32 v35, s59
	v_lshlrev_b32_e32 v62, 3, v6
	ds_read_b64 v[6:7], v29
	ds_read_b64 v[8:9], v61
	;; [unrolled: 1-line block ×3, first 2 shown]
	s_waitcnt lgkmcnt(3)
	v_lshlrev_b64 v[0:1], 1, v[0:1]
	v_add_co_u32_e32 v0, vcc, s58, v0
	v_addc_co_u32_e32 v1, vcc, v35, v1, vcc
	v_add_co_u32_e32 v0, vcc, v0, v16
	v_addc_co_u32_e32 v1, vcc, 0, v1, vcc
	v_cmp_gt_i16_e32 vcc, 0, v38
	global_store_short v[0:1], v21, off offset:2560
	v_cndmask_b32_e64 v0, v12, 0, vcc
	v_xor_b32_e32 v21, v0, v38
	s_waitcnt lgkmcnt(2)
	v_lshlrev_b64 v[0:1], 1, v[6:7]
	v_mov_b32_e32 v6, s59
	v_add_co_u32_e32 v0, vcc, s58, v0
	v_addc_co_u32_e32 v1, vcc, v6, v1, vcc
	v_add_co_u32_e32 v0, vcc, v0, v16
	v_addc_co_u32_e32 v1, vcc, 0, v1, vcc
	v_cmp_gt_i16_e32 vcc, 0, v31
	global_store_short v[0:1], v21, off offset:3072
	v_cndmask_b32_e64 v0, v12, 0, vcc
	v_xor_b32_e32 v6, v0, v31
	s_waitcnt lgkmcnt(1)
	v_lshlrev_b64 v[0:1], 1, v[8:9]
	v_mov_b32_e32 v7, s59
	v_add_co_u32_e32 v0, vcc, s58, v0
	v_addc_co_u32_e32 v1, vcc, v7, v1, vcc
	v_add_co_u32_e32 v0, vcc, v0, v16
	v_addc_co_u32_e32 v1, vcc, 0, v1, vcc
	v_cmp_gt_i16_e32 vcc, 0, v39
	global_store_short v[0:1], v6, off offset:3584
	v_cndmask_b32_e64 v0, v12, 0, vcc
	v_xor_b32_e32 v6, v0, v39
	s_waitcnt lgkmcnt(0)
	v_lshlrev_b64 v[0:1], 1, v[26:27]
	v_or_b32_e32 v16, 0x800, v2
	v_add_co_u32_e32 v0, vcc, s58, v0
	v_addc_co_u32_e32 v1, vcc, v7, v1, vcc
	v_lshlrev_b32_e32 v7, 1, v16
	v_add_co_u32_e32 v0, vcc, v0, v7
	v_addc_co_u32_e32 v1, vcc, 0, v1, vcc
	v_cmp_ne_u16_e32 vcc, s0, v34
	global_store_short v[0:1], v6, off
	v_cndmask_b32_e32 v0, v12, v34, vcc
	v_lshrrev_b32_sdwa v0, s68, v0 dst_sel:DWORD dst_unused:UNUSED_PAD src0_sel:DWORD src1_sel:WORD_0
	v_and_b32_e32 v26, s9, v0
	v_cmp_gt_i16_e32 vcc, 0, v34
	v_lshlrev_b32_e32 v0, 3, v11
	v_cndmask_b32_e64 v8, v12, 0, vcc
	v_mov_b32_e32 v1, s2
	v_add_co_u32_e32 v0, vcc, s1, v0
	v_addc_co_u32_e32 v1, vcc, 0, v1, vcc
	v_lshlrev_b32_e32 v6, 3, v10
	v_add_co_u32_e32 v0, vcc, v0, v6
	v_addc_co_u32_e32 v1, vcc, 0, v1, vcc
	global_load_dwordx2 v[6:7], v[0:1], off
	v_xor_b32_e32 v31, v8, v34
	global_load_dwordx2 v[8:9], v[0:1], off offset:512
	s_movk_i32 s1, 0x1000
	v_lshlrev_b32_e32 v63, 3, v26
	global_load_dwordx2 v[10:11], v[0:1], off offset:1024
	global_load_dwordx2 v[26:27], v[0:1], off offset:1536
	;; [unrolled: 1-line block ×6, first 2 shown]
	v_add_co_u32_e32 v0, vcc, s1, v0
	v_addc_co_u32_e32 v1, vcc, 0, v1, vcc
	global_load_dwordx2 v[42:43], v[0:1], off
	global_load_dwordx2 v[44:45], v[0:1], off offset:512
	v_cmp_ne_u16_e32 vcc, s0, v58
	v_cndmask_b32_e32 v46, v12, v58, vcc
	v_lshrrev_b32_sdwa v48, s68, v46 dst_sel:DWORD dst_unused:UNUSED_PAD src0_sel:DWORD src1_sel:WORD_0
	global_load_dwordx2 v[46:47], v[0:1], off offset:1024
	v_and_b32_e32 v48, s9, v48
	global_load_dwordx2 v[0:1], v[0:1], off offset:1536
	v_cmp_ne_u16_e32 vcc, s0, v54
	v_lshlrev_b32_e32 v64, 3, v48
	v_cndmask_b32_e32 v48, v12, v54, vcc
	v_lshrrev_b32_sdwa v50, s68, v48 dst_sel:DWORD dst_unused:UNUSED_PAD src0_sel:DWORD src1_sel:WORD_0
	ds_read_b64 v[48:49], v63
	v_add_u32_e32 v21, 0x900, v2
	v_and_b32_e32 v50, s9, v50
	v_lshlrev_b32_e32 v65, 3, v50
	ds_read_b64 v[50:51], v64
	ds_read_b64 v[52:53], v65
	s_waitcnt lgkmcnt(2)
	v_lshlrev_b64 v[48:49], 1, v[48:49]
	v_add_co_u32_e32 v48, vcc, s58, v48
	v_addc_co_u32_e32 v49, vcc, v66, v49, vcc
	v_lshlrev_b32_e32 v66, 1, v21
	v_add_co_u32_e32 v48, vcc, v48, v66
	v_addc_co_u32_e32 v49, vcc, 0, v49, vcc
	v_cmp_gt_i16_e32 vcc, 0, v58
	global_store_short v[48:49], v31, off
	v_cndmask_b32_e64 v48, v12, 0, vcc
	v_xor_b32_e32 v58, v48, v58
	s_waitcnt lgkmcnt(1)
	v_lshlrev_b64 v[48:49], 1, v[50:51]
	v_add_u32_e32 v31, 0xa00, v2
	v_mov_b32_e32 v50, s59
	v_add_co_u32_e32 v48, vcc, s58, v48
	v_addc_co_u32_e32 v49, vcc, v50, v49, vcc
	v_lshlrev_b32_e32 v50, 1, v31
	v_add_co_u32_e32 v48, vcc, v48, v50
	v_addc_co_u32_e32 v49, vcc, 0, v49, vcc
	global_store_short v[48:49], v58, off
	v_cmp_gt_i16_e32 vcc, 0, v54
	s_waitcnt lgkmcnt(0)
	v_lshlrev_b64 v[48:49], 1, v[52:53]
	v_add_u32_e32 v50, 0xb00, v2
	v_cndmask_b32_e64 v12, v12, 0, vcc
	v_mov_b32_e32 v51, s59
	v_add_co_u32_e32 v48, vcc, s58, v48
	v_addc_co_u32_e32 v49, vcc, v51, v49, vcc
	v_lshlrev_b32_e32 v51, 1, v50
	v_add_co_u32_e32 v48, vcc, v48, v51
	v_xor_b32_e32 v12, v12, v54
	v_addc_co_u32_e32 v49, vcc, 0, v49, vcc
	global_store_short v[48:49], v12, off
	v_lshlrev_b32_e32 v12, 3, v30
	s_barrier
	v_lshlrev_b32_e32 v16, 3, v16
	s_cselect_b64 s[0:1], -1, 0
	s_waitcnt vmcnt(14)
	ds_write_b64 v12, v[6:7] offset:2048
	v_lshlrev_b32_e32 v6, 3, v28
	s_waitcnt vmcnt(13)
	ds_write_b64 v6, v[8:9] offset:2048
	v_lshlrev_b32_e32 v6, 3, v25
	;; [unrolled: 3-line block ×11, first 2 shown]
	s_waitcnt vmcnt(3)
	ds_write_b64 v6, v[0:1] offset:2048
	s_waitcnt lgkmcnt(0)
	s_barrier
	ds_read_b64 v[0:1], v55
	ds_read2st64_b64 v[6:9], v33 offset0:4 offset1:8
	ds_read_b64 v[10:11], v56
	ds_read_b64 v[12:13], v59
	;; [unrolled: 1-line block ×3, first 2 shown]
	s_waitcnt lgkmcnt(4)
	v_lshlrev_b64 v[0:1], 3, v[0:1]
	v_mov_b32_e32 v17, s63
	v_add_co_u32_e32 v0, vcc, s62, v0
	v_addc_co_u32_e32 v1, vcc, v17, v1, vcc
	v_add_co_u32_e32 v0, vcc, v0, v33
	v_addc_co_u32_e32 v1, vcc, 0, v1, vcc
	s_waitcnt lgkmcnt(3)
	global_store_dwordx2 v[0:1], v[6:7], off
	s_waitcnt lgkmcnt(2)
	v_lshlrev_b64 v[0:1], 3, v[10:11]
	v_mov_b32_e32 v6, s63
	v_add_co_u32_e32 v0, vcc, s62, v0
	v_addc_co_u32_e32 v1, vcc, v6, v1, vcc
	v_add_co_u32_e32 v0, vcc, v0, v33
	v_addc_co_u32_e32 v1, vcc, 0, v1, vcc
	global_store_dwordx2 v[0:1], v[8:9], off offset:2048
	ds_read2st64_b64 v[6:9], v33 offset0:12 offset1:16
	s_waitcnt lgkmcnt(2)
	v_lshlrev_b64 v[0:1], 3, v[12:13]
	v_mov_b32_e32 v10, s63
	v_add_co_u32_e32 v0, vcc, s62, v0
	v_addc_co_u32_e32 v1, vcc, v10, v1, vcc
	v_add_u32_e32 v10, 0x1000, v33
	v_add_co_u32_e32 v0, vcc, v0, v10
	v_addc_co_u32_e32 v1, vcc, 0, v1, vcc
	s_waitcnt lgkmcnt(0)
	global_store_dwordx2 v[0:1], v[6:7], off
	v_lshlrev_b64 v[0:1], 3, v[14:15]
	v_mov_b32_e32 v6, s63
	v_add_co_u32_e32 v0, vcc, s62, v0
	v_addc_co_u32_e32 v1, vcc, v6, v1, vcc
	v_add_u32_e32 v6, 0x1800, v33
	v_add_co_u32_e32 v0, vcc, v0, v6
	v_addc_co_u32_e32 v1, vcc, 0, v1, vcc
	global_store_dwordx2 v[0:1], v[8:9], off
	ds_read_b64 v[0:1], v60
	ds_read2st64_b64 v[6:9], v33 offset0:20 offset1:24
	ds_read_b64 v[10:11], v24
	ds_read_b64 v[12:13], v29
	;; [unrolled: 1-line block ×3, first 2 shown]
	s_waitcnt lgkmcnt(4)
	v_lshlrev_b64 v[0:1], 3, v[0:1]
	v_add_co_u32_e32 v0, vcc, s62, v0
	v_addc_co_u32_e32 v1, vcc, v17, v1, vcc
	v_or_b32_e32 v17, 0x2000, v33
	v_add_co_u32_e32 v0, vcc, v0, v17
	v_addc_co_u32_e32 v1, vcc, 0, v1, vcc
	s_waitcnt lgkmcnt(3)
	global_store_dwordx2 v[0:1], v[6:7], off
	s_waitcnt lgkmcnt(2)
	v_lshlrev_b64 v[0:1], 3, v[10:11]
	v_mov_b32_e32 v6, s63
	v_add_co_u32_e32 v0, vcc, s62, v0
	v_addc_co_u32_e32 v1, vcc, v6, v1, vcc
	v_add_u32_e32 v6, 0x2800, v33
	v_add_co_u32_e32 v0, vcc, v0, v6
	v_addc_co_u32_e32 v1, vcc, 0, v1, vcc
	global_store_dwordx2 v[0:1], v[8:9], off
	ds_read2st64_b64 v[6:9], v33 offset0:28 offset1:32
	s_waitcnt lgkmcnt(2)
	v_lshlrev_b64 v[0:1], 3, v[12:13]
	v_mov_b32_e32 v10, s63
	v_add_co_u32_e32 v0, vcc, s62, v0
	v_addc_co_u32_e32 v1, vcc, v10, v1, vcc
	v_add_u32_e32 v10, 0x3000, v33
	v_add_co_u32_e32 v0, vcc, v0, v10
	v_addc_co_u32_e32 v1, vcc, 0, v1, vcc
	s_waitcnt lgkmcnt(0)
	global_store_dwordx2 v[0:1], v[6:7], off
	v_lshlrev_b64 v[0:1], 3, v[14:15]
	v_mov_b32_e32 v6, s63
	v_add_co_u32_e32 v0, vcc, s62, v0
	v_addc_co_u32_e32 v1, vcc, v6, v1, vcc
	v_add_u32_e32 v6, 0x3800, v33
	v_add_co_u32_e32 v0, vcc, v0, v6
	v_addc_co_u32_e32 v1, vcc, 0, v1, vcc
	global_store_dwordx2 v[0:1], v[8:9], off
	ds_read_b64 v[0:1], v62
	ds_read2st64_b64 v[6:9], v33 offset0:36 offset1:40
	ds_read_b64 v[10:11], v63
	ds_read_b64 v[12:13], v64
	;; [unrolled: 1-line block ×3, first 2 shown]
	s_waitcnt lgkmcnt(4)
	v_lshlrev_b64 v[0:1], 3, v[0:1]
	v_mov_b32_e32 v17, s63
	v_add_co_u32_e32 v0, vcc, s62, v0
	v_addc_co_u32_e32 v1, vcc, v17, v1, vcc
	v_add_co_u32_e32 v0, vcc, v0, v16
	v_addc_co_u32_e32 v1, vcc, 0, v1, vcc
	s_waitcnt lgkmcnt(3)
	global_store_dwordx2 v[0:1], v[6:7], off
	s_waitcnt lgkmcnt(2)
	v_lshlrev_b64 v[0:1], 3, v[10:11]
	v_mov_b32_e32 v6, s63
	v_add_co_u32_e32 v0, vcc, s62, v0
	v_addc_co_u32_e32 v1, vcc, v6, v1, vcc
	v_lshlrev_b32_e32 v6, 3, v21
	v_add_co_u32_e32 v0, vcc, v0, v6
	v_addc_co_u32_e32 v1, vcc, 0, v1, vcc
	global_store_dwordx2 v[0:1], v[8:9], off
	ds_read2st64_b64 v[6:9], v33 offset0:44 offset1:48
	s_waitcnt lgkmcnt(2)
	v_lshlrev_b64 v[0:1], 3, v[12:13]
	v_mov_b32_e32 v10, s63
	v_add_co_u32_e32 v0, vcc, s62, v0
	v_addc_co_u32_e32 v1, vcc, v10, v1, vcc
	v_lshlrev_b32_e32 v10, 3, v31
	v_add_co_u32_e32 v0, vcc, v0, v10
	v_addc_co_u32_e32 v1, vcc, 0, v1, vcc
	s_waitcnt lgkmcnt(0)
	global_store_dwordx2 v[0:1], v[6:7], off
	v_lshlrev_b64 v[0:1], 3, v[14:15]
	v_mov_b32_e32 v6, s63
	v_add_co_u32_e32 v0, vcc, s62, v0
	v_addc_co_u32_e32 v1, vcc, v6, v1, vcc
	v_lshlrev_b32_e32 v6, 3, v50
	v_add_co_u32_e32 v0, vcc, v0, v6
	v_addc_co_u32_e32 v1, vcc, 0, v1, vcc
	global_store_dwordx2 v[0:1], v[8:9], off
.LBB12_171:
	s_and_b64 vcc, exec, s[0:1]
	s_cbranch_vccnz .LBB12_173
; %bb.172:
	s_endpgm
.LBB12_173:
	v_lshlrev_b64 v[0:1], 3, v[2:3]
	ds_read_b64 v[2:3], v33
	v_add_co_u32_e32 v4, vcc, v4, v32
	v_addc_co_u32_e32 v5, vcc, 0, v5, vcc
	v_mov_b32_e32 v6, s67
	v_add_co_u32_e32 v0, vcc, s66, v0
	v_addc_co_u32_e32 v1, vcc, v6, v1, vcc
	s_waitcnt lgkmcnt(0)
	v_add_co_u32_e32 v2, vcc, v4, v2
	v_addc_co_u32_e32 v3, vcc, v5, v3, vcc
	global_store_dwordx2 v[0:1], v[2:3], off
	s_endpgm
.LBB12_174:
	global_load_dwordx2 v[6:7], v[30:31], off
	s_or_b64 exec, exec, s[52:53]
                                        ; implicit-def: $vgpr8_vgpr9
	s_and_saveexec_b64 s[52:53], s[0:1]
	s_cbranch_execz .LBB12_91
.LBB12_175:
	global_load_dwordx2 v[8:9], v[30:31], off offset:512
	s_or_b64 exec, exec, s[52:53]
                                        ; implicit-def: $vgpr10_vgpr11
	s_and_saveexec_b64 s[0:1], s[2:3]
	s_cbranch_execz .LBB12_92
.LBB12_176:
	global_load_dwordx2 v[10:11], v[30:31], off offset:1024
	s_or_b64 exec, exec, s[0:1]
                                        ; implicit-def: $vgpr12_vgpr13
	s_and_saveexec_b64 s[0:1], s[50:51]
	s_cbranch_execz .LBB12_93
.LBB12_177:
	global_load_dwordx2 v[12:13], v[30:31], off offset:1536
	s_or_b64 exec, exec, s[0:1]
                                        ; implicit-def: $vgpr14_vgpr15
	s_and_saveexec_b64 s[0:1], s[8:9]
	s_cbranch_execz .LBB12_94
.LBB12_178:
	global_load_dwordx2 v[14:15], v[30:31], off offset:2048
	s_or_b64 exec, exec, s[0:1]
                                        ; implicit-def: $vgpr16_vgpr17
	s_and_saveexec_b64 s[0:1], s[12:13]
	s_cbranch_execz .LBB12_95
.LBB12_179:
	global_load_dwordx2 v[16:17], v[30:31], off offset:2560
	s_or_b64 exec, exec, s[0:1]
                                        ; implicit-def: $vgpr18_vgpr19
	s_and_saveexec_b64 s[0:1], s[16:17]
	s_cbranch_execz .LBB12_96
.LBB12_180:
	global_load_dwordx2 v[18:19], v[30:31], off offset:3072
	s_or_b64 exec, exec, s[0:1]
                                        ; implicit-def: $vgpr20_vgpr21
	s_and_saveexec_b64 s[0:1], s[20:21]
	s_cbranch_execz .LBB12_97
.LBB12_181:
	global_load_dwordx2 v[20:21], v[30:31], off offset:3584
	s_or_b64 exec, exec, s[0:1]
                                        ; implicit-def: $vgpr22_vgpr23
	s_and_saveexec_b64 s[0:1], s[22:23]
	s_cbranch_execz .LBB12_98
.LBB12_182:
	v_add_co_u32_e32 v22, vcc, 0x1000, v30
	v_addc_co_u32_e32 v23, vcc, 0, v31, vcc
	global_load_dwordx2 v[22:23], v[22:23], off
	s_or_b64 exec, exec, s[0:1]
                                        ; implicit-def: $vgpr24_vgpr25
	s_and_saveexec_b64 s[0:1], s[18:19]
	s_cbranch_execz .LBB12_99
.LBB12_183:
	v_add_co_u32_e32 v24, vcc, 0x1000, v30
	v_addc_co_u32_e32 v25, vcc, 0, v31, vcc
	global_load_dwordx2 v[24:25], v[24:25], off offset:512
	s_or_b64 exec, exec, s[0:1]
                                        ; implicit-def: $vgpr26_vgpr27
	s_and_saveexec_b64 s[0:1], s[14:15]
	s_cbranch_execz .LBB12_100
.LBB12_184:
	v_add_co_u32_e32 v26, vcc, 0x1000, v30
	v_addc_co_u32_e32 v27, vcc, 0, v31, vcc
	global_load_dwordx2 v[26:27], v[26:27], off offset:1024
	s_or_b64 exec, exec, s[0:1]
                                        ; implicit-def: $vgpr28_vgpr29
	s_and_saveexec_b64 s[0:1], s[10:11]
	s_cbranch_execz .LBB12_101
.LBB12_185:
	v_add_co_u32_e32 v28, vcc, 0x1000, v30
	v_addc_co_u32_e32 v29, vcc, 0, v31, vcc
	global_load_dwordx2 v[28:29], v[28:29], off offset:1536
	s_or_b64 exec, exec, s[0:1]
                                        ; implicit-def: $vgpr65
	s_and_saveexec_b64 s[0:1], s[24:25]
	s_cbranch_execz .LBB12_102
.LBB12_186:
	v_lshlrev_b32_e32 v30, 1, v2
	ds_read_u16 v30, v30 offset:2048
	s_movk_i32 s2, 0x8000
	v_mov_b32_e32 v31, 0x7fff
	s_waitcnt lgkmcnt(0)
	v_cmp_ne_u16_e32 vcc, s2, v30
	v_cndmask_b32_e32 v30, v31, v30, vcc
	v_lshrrev_b32_sdwa v30, s68, v30 dst_sel:DWORD dst_unused:UNUSED_PAD src0_sel:DWORD src1_sel:WORD_0
	v_and_b32_e32 v65, s74, v30
	s_or_b64 exec, exec, s[0:1]
                                        ; implicit-def: $vgpr64
	s_and_saveexec_b64 s[0:1], s[26:27]
	s_cbranch_execz .LBB12_103
.LBB12_187:
	v_lshlrev_b32_e32 v30, 1, v2
	ds_read_u16 v30, v30 offset:2560
	s_movk_i32 s2, 0x8000
	v_mov_b32_e32 v31, 0x7fff
	s_waitcnt lgkmcnt(0)
	v_cmp_ne_u16_e32 vcc, s2, v30
	v_cndmask_b32_e32 v30, v31, v30, vcc
	v_lshrrev_b32_sdwa v30, s68, v30 dst_sel:DWORD dst_unused:UNUSED_PAD src0_sel:DWORD src1_sel:WORD_0
	v_and_b32_e32 v64, s74, v30
	s_or_b64 exec, exec, s[0:1]
                                        ; implicit-def: $vgpr63
	s_and_saveexec_b64 s[0:1], s[28:29]
	s_cbranch_execz .LBB12_104
.LBB12_188:
	v_lshlrev_b32_e32 v30, 1, v2
	ds_read_u16 v30, v30 offset:3072
	s_movk_i32 s2, 0x8000
	v_mov_b32_e32 v31, 0x7fff
	s_waitcnt lgkmcnt(0)
	v_cmp_ne_u16_e32 vcc, s2, v30
	v_cndmask_b32_e32 v30, v31, v30, vcc
	v_lshrrev_b32_sdwa v30, s68, v30 dst_sel:DWORD dst_unused:UNUSED_PAD src0_sel:DWORD src1_sel:WORD_0
	v_and_b32_e32 v63, s74, v30
	s_or_b64 exec, exec, s[0:1]
                                        ; implicit-def: $vgpr62
	s_and_saveexec_b64 s[0:1], s[30:31]
	s_cbranch_execz .LBB12_105
.LBB12_189:
	v_lshlrev_b32_e32 v30, 1, v2
	ds_read_u16 v30, v30 offset:3584
	s_movk_i32 s2, 0x8000
	v_mov_b32_e32 v31, 0x7fff
	s_waitcnt lgkmcnt(0)
	v_cmp_ne_u16_e32 vcc, s2, v30
	v_cndmask_b32_e32 v30, v31, v30, vcc
	v_lshrrev_b32_sdwa v30, s68, v30 dst_sel:DWORD dst_unused:UNUSED_PAD src0_sel:DWORD src1_sel:WORD_0
	v_and_b32_e32 v62, s74, v30
	s_or_b64 exec, exec, s[0:1]
                                        ; implicit-def: $vgpr61
	s_and_saveexec_b64 s[0:1], s[34:35]
	s_cbranch_execz .LBB12_106
.LBB12_190:
	v_lshlrev_b32_e32 v30, 1, v2
	ds_read_u16 v30, v30 offset:4096
	s_movk_i32 s2, 0x8000
	v_mov_b32_e32 v31, 0x7fff
	s_waitcnt lgkmcnt(0)
	v_cmp_ne_u16_e32 vcc, s2, v30
	v_cndmask_b32_e32 v30, v31, v30, vcc
	v_lshrrev_b32_sdwa v30, s68, v30 dst_sel:DWORD dst_unused:UNUSED_PAD src0_sel:DWORD src1_sel:WORD_0
	v_and_b32_e32 v61, s74, v30
	s_or_b64 exec, exec, s[0:1]
                                        ; implicit-def: $vgpr60
	s_and_saveexec_b64 s[0:1], s[36:37]
	s_cbranch_execz .LBB12_107
.LBB12_191:
	v_lshlrev_b32_e32 v30, 1, v2
	ds_read_u16 v30, v30 offset:4608
	s_movk_i32 s2, 0x8000
	v_mov_b32_e32 v31, 0x7fff
	s_waitcnt lgkmcnt(0)
	v_cmp_ne_u16_e32 vcc, s2, v30
	v_cndmask_b32_e32 v30, v31, v30, vcc
	v_lshrrev_b32_sdwa v30, s68, v30 dst_sel:DWORD dst_unused:UNUSED_PAD src0_sel:DWORD src1_sel:WORD_0
	v_and_b32_e32 v60, s74, v30
	s_or_b64 exec, exec, s[0:1]
                                        ; implicit-def: $vgpr59
	s_and_saveexec_b64 s[0:1], s[38:39]
	s_cbranch_execz .LBB12_108
.LBB12_192:
	v_lshlrev_b32_e32 v30, 1, v2
	ds_read_u16 v30, v30 offset:5120
	s_movk_i32 s2, 0x8000
	v_mov_b32_e32 v31, 0x7fff
	s_waitcnt lgkmcnt(0)
	v_cmp_ne_u16_e32 vcc, s2, v30
	v_cndmask_b32_e32 v30, v31, v30, vcc
	v_lshrrev_b32_sdwa v30, s68, v30 dst_sel:DWORD dst_unused:UNUSED_PAD src0_sel:DWORD src1_sel:WORD_0
	v_and_b32_e32 v59, s74, v30
	s_or_b64 exec, exec, s[0:1]
                                        ; implicit-def: $vgpr58
	s_and_saveexec_b64 s[0:1], s[40:41]
	s_cbranch_execz .LBB12_109
.LBB12_193:
	v_lshlrev_b32_e32 v30, 1, v2
	ds_read_u16 v30, v30 offset:5632
	s_movk_i32 s2, 0x8000
	v_mov_b32_e32 v31, 0x7fff
	s_waitcnt lgkmcnt(0)
	v_cmp_ne_u16_e32 vcc, s2, v30
	v_cndmask_b32_e32 v30, v31, v30, vcc
	v_lshrrev_b32_sdwa v30, s68, v30 dst_sel:DWORD dst_unused:UNUSED_PAD src0_sel:DWORD src1_sel:WORD_0
	v_and_b32_e32 v58, s74, v30
	s_or_b64 exec, exec, s[0:1]
                                        ; implicit-def: $vgpr57
	s_and_saveexec_b64 s[0:1], s[42:43]
	s_cbranch_execnz .LBB12_110
	s_branch .LBB12_111
.LBB12_194:
	v_lshlrev_b32_e32 v31, 1, v2
	ds_read_u16 v31, v31 offset:6656
	s_movk_i32 s2, 0x8000
	v_mov_b32_e32 v56, 0x7fff
	s_waitcnt lgkmcnt(0)
	v_cmp_ne_u16_e32 vcc, s2, v31
	v_cndmask_b32_e32 v31, v56, v31, vcc
	v_lshrrev_b32_sdwa v31, s68, v31 dst_sel:DWORD dst_unused:UNUSED_PAD src0_sel:DWORD src1_sel:WORD_0
	v_and_b32_e32 v56, s74, v31
	s_or_b64 exec, exec, s[0:1]
	s_and_saveexec_b64 s[0:1], s[46:47]
	s_cbranch_execz .LBB12_113
.LBB12_195:
	v_lshlrev_b32_e32 v30, 1, v2
	ds_read_u16 v30, v30 offset:7168
	s_movk_i32 s2, 0x8000
	v_mov_b32_e32 v31, 0x7fff
	s_waitcnt lgkmcnt(0)
	v_cmp_ne_u16_e32 vcc, s2, v30
	v_cndmask_b32_e32 v30, v31, v30, vcc
	v_lshrrev_b32_sdwa v30, s68, v30 dst_sel:DWORD dst_unused:UNUSED_PAD src0_sel:DWORD src1_sel:WORD_0
	v_and_b32_e32 v30, s74, v30
	s_or_b64 exec, exec, s[0:1]
	v_mov_b32_e32 v31, 0
	s_and_saveexec_b64 s[0:1], s[48:49]
	s_cbranch_execnz .LBB12_114
	s_branch .LBB12_115
.LBB12_196:
	v_lshlrev_b32_e32 v6, 3, v65
	ds_read_b64 v[6:7], v6
	ds_read_b64 v[8:9], v33 offset:2048
	v_mov_b32_e32 v10, s63
	s_waitcnt lgkmcnt(1)
	v_lshlrev_b64 v[6:7], 3, v[6:7]
	v_add_co_u32_e32 v6, vcc, s62, v6
	v_addc_co_u32_e32 v7, vcc, v10, v7, vcc
	v_add_co_u32_e32 v6, vcc, v6, v33
	v_addc_co_u32_e32 v7, vcc, 0, v7, vcc
	s_waitcnt lgkmcnt(0)
	global_store_dwordx2 v[6:7], v[8:9], off
	s_or_b64 exec, exec, s[0:1]
	s_and_saveexec_b64 s[0:1], s[26:27]
	s_cbranch_execz .LBB12_117
.LBB12_197:
	v_lshlrev_b32_e32 v6, 3, v64
	ds_read_b64 v[6:7], v6
	v_lshlrev_b32_e32 v10, 3, v2
	ds_read_b64 v[8:9], v10 offset:4096
	v_mov_b32_e32 v11, s63
	s_waitcnt lgkmcnt(1)
	v_lshlrev_b64 v[6:7], 3, v[6:7]
	v_add_co_u32_e32 v6, vcc, s62, v6
	v_addc_co_u32_e32 v7, vcc, v11, v7, vcc
	v_add_co_u32_e32 v6, vcc, v6, v10
	v_addc_co_u32_e32 v7, vcc, 0, v7, vcc
	s_waitcnt lgkmcnt(0)
	global_store_dwordx2 v[6:7], v[8:9], off offset:2048
	s_or_b64 exec, exec, s[0:1]
	s_and_saveexec_b64 s[0:1], s[28:29]
	s_cbranch_execz .LBB12_118
.LBB12_198:
	v_lshlrev_b32_e32 v6, 3, v63
	ds_read_b64 v[6:7], v6
	v_lshlrev_b32_e32 v8, 3, v2
	ds_read_b64 v[8:9], v8 offset:6144
	v_mov_b32_e32 v10, s63
	s_waitcnt lgkmcnt(1)
	v_lshlrev_b64 v[6:7], 3, v[6:7]
	v_add_co_u32_e32 v6, vcc, s62, v6
	v_addc_co_u32_e32 v7, vcc, v10, v7, vcc
	v_lshlrev_b32_e32 v10, 3, v46
	v_add_co_u32_e32 v6, vcc, v6, v10
	v_addc_co_u32_e32 v7, vcc, 0, v7, vcc
	s_waitcnt lgkmcnt(0)
	global_store_dwordx2 v[6:7], v[8:9], off
	s_or_b64 exec, exec, s[0:1]
	s_and_saveexec_b64 s[0:1], s[30:31]
	s_cbranch_execz .LBB12_119
.LBB12_199:
	v_lshlrev_b32_e32 v6, 3, v62
	ds_read_b64 v[6:7], v6
	v_lshlrev_b32_e32 v8, 3, v2
	ds_read_b64 v[8:9], v8 offset:8192
	v_mov_b32_e32 v10, s63
	s_waitcnt lgkmcnt(1)
	v_lshlrev_b64 v[6:7], 3, v[6:7]
	v_add_co_u32_e32 v6, vcc, s62, v6
	v_addc_co_u32_e32 v7, vcc, v10, v7, vcc
	v_lshlrev_b32_e32 v10, 3, v47
	v_add_co_u32_e32 v6, vcc, v6, v10
	v_addc_co_u32_e32 v7, vcc, 0, v7, vcc
	s_waitcnt lgkmcnt(0)
	global_store_dwordx2 v[6:7], v[8:9], off
	s_or_b64 exec, exec, s[0:1]
	s_and_saveexec_b64 s[0:1], s[34:35]
	s_cbranch_execz .LBB12_120
.LBB12_200:
	v_lshlrev_b32_e32 v6, 3, v61
	ds_read_b64 v[6:7], v6
	v_lshlrev_b32_e32 v8, 3, v2
	ds_read_b64 v[8:9], v8 offset:10240
	v_mov_b32_e32 v10, s63
	s_waitcnt lgkmcnt(1)
	v_lshlrev_b64 v[6:7], 3, v[6:7]
	v_add_co_u32_e32 v6, vcc, s62, v6
	v_addc_co_u32_e32 v7, vcc, v10, v7, vcc
	v_lshlrev_b32_e32 v10, 3, v48
	v_add_co_u32_e32 v6, vcc, v6, v10
	v_addc_co_u32_e32 v7, vcc, 0, v7, vcc
	s_waitcnt lgkmcnt(0)
	global_store_dwordx2 v[6:7], v[8:9], off
	s_or_b64 exec, exec, s[0:1]
	s_and_saveexec_b64 s[0:1], s[36:37]
	s_cbranch_execz .LBB12_121
.LBB12_201:
	v_lshlrev_b32_e32 v6, 3, v60
	ds_read_b64 v[6:7], v6
	v_lshlrev_b32_e32 v8, 3, v2
	ds_read_b64 v[8:9], v8 offset:12288
	v_mov_b32_e32 v10, s63
	s_waitcnt lgkmcnt(1)
	v_lshlrev_b64 v[6:7], 3, v[6:7]
	v_add_co_u32_e32 v6, vcc, s62, v6
	v_addc_co_u32_e32 v7, vcc, v10, v7, vcc
	v_lshlrev_b32_e32 v10, 3, v49
	v_add_co_u32_e32 v6, vcc, v6, v10
	v_addc_co_u32_e32 v7, vcc, 0, v7, vcc
	s_waitcnt lgkmcnt(0)
	global_store_dwordx2 v[6:7], v[8:9], off
	s_or_b64 exec, exec, s[0:1]
	s_and_saveexec_b64 s[0:1], s[38:39]
	s_cbranch_execz .LBB12_122
.LBB12_202:
	v_lshlrev_b32_e32 v6, 3, v59
	ds_read_b64 v[6:7], v6
	v_lshlrev_b32_e32 v8, 3, v2
	ds_read_b64 v[8:9], v8 offset:14336
	v_mov_b32_e32 v10, s63
	s_waitcnt lgkmcnt(1)
	v_lshlrev_b64 v[6:7], 3, v[6:7]
	v_add_co_u32_e32 v6, vcc, s62, v6
	v_addc_co_u32_e32 v7, vcc, v10, v7, vcc
	v_lshlrev_b32_e32 v10, 3, v50
	v_add_co_u32_e32 v6, vcc, v6, v10
	v_addc_co_u32_e32 v7, vcc, 0, v7, vcc
	s_waitcnt lgkmcnt(0)
	global_store_dwordx2 v[6:7], v[8:9], off
	s_or_b64 exec, exec, s[0:1]
	s_and_saveexec_b64 s[0:1], s[40:41]
	s_cbranch_execz .LBB12_123
.LBB12_203:
	v_lshlrev_b32_e32 v6, 3, v58
	ds_read_b64 v[6:7], v6
	v_lshlrev_b32_e32 v8, 3, v2
	ds_read_b64 v[8:9], v8 offset:16384
	v_mov_b32_e32 v10, s63
	s_waitcnt lgkmcnt(1)
	v_lshlrev_b64 v[6:7], 3, v[6:7]
	v_add_co_u32_e32 v6, vcc, s62, v6
	v_addc_co_u32_e32 v7, vcc, v10, v7, vcc
	v_lshlrev_b32_e32 v10, 3, v51
	v_add_co_u32_e32 v6, vcc, v6, v10
	v_addc_co_u32_e32 v7, vcc, 0, v7, vcc
	s_waitcnt lgkmcnt(0)
	global_store_dwordx2 v[6:7], v[8:9], off
	s_or_b64 exec, exec, s[0:1]
	s_and_saveexec_b64 s[0:1], s[42:43]
	s_cbranch_execz .LBB12_124
.LBB12_204:
	v_lshlrev_b32_e32 v6, 3, v57
	ds_read_b64 v[6:7], v6
	v_lshlrev_b32_e32 v8, 3, v2
	ds_read_b64 v[8:9], v8 offset:18432
	v_mov_b32_e32 v10, s63
	s_waitcnt lgkmcnt(1)
	v_lshlrev_b64 v[6:7], 3, v[6:7]
	v_add_co_u32_e32 v6, vcc, s62, v6
	v_addc_co_u32_e32 v7, vcc, v10, v7, vcc
	v_lshlrev_b32_e32 v10, 3, v52
	v_add_co_u32_e32 v6, vcc, v6, v10
	v_addc_co_u32_e32 v7, vcc, 0, v7, vcc
	s_waitcnt lgkmcnt(0)
	global_store_dwordx2 v[6:7], v[8:9], off
	s_or_b64 exec, exec, s[0:1]
	s_and_saveexec_b64 s[0:1], s[44:45]
	s_cbranch_execz .LBB12_125
.LBB12_205:
	v_lshlrev_b32_e32 v6, 3, v56
	ds_read_b64 v[6:7], v6
	v_lshlrev_b32_e32 v8, 3, v2
	ds_read_b64 v[8:9], v8 offset:20480
	v_mov_b32_e32 v10, s63
	s_waitcnt lgkmcnt(1)
	v_lshlrev_b64 v[6:7], 3, v[6:7]
	v_add_co_u32_e32 v6, vcc, s62, v6
	v_addc_co_u32_e32 v7, vcc, v10, v7, vcc
	v_lshlrev_b32_e32 v10, 3, v53
	v_add_co_u32_e32 v6, vcc, v6, v10
	v_addc_co_u32_e32 v7, vcc, 0, v7, vcc
	s_waitcnt lgkmcnt(0)
	global_store_dwordx2 v[6:7], v[8:9], off
	s_or_b64 exec, exec, s[0:1]
	s_and_saveexec_b64 s[0:1], s[46:47]
	s_cbranch_execz .LBB12_126
.LBB12_206:
	v_lshlrev_b32_e32 v6, 3, v30
	ds_read_b64 v[6:7], v6
	v_lshlrev_b32_e32 v8, 3, v2
	ds_read_b64 v[8:9], v8 offset:22528
	v_mov_b32_e32 v10, s63
	s_waitcnt lgkmcnt(1)
	v_lshlrev_b64 v[6:7], 3, v[6:7]
	v_add_co_u32_e32 v6, vcc, s62, v6
	v_addc_co_u32_e32 v7, vcc, v10, v7, vcc
	v_lshlrev_b32_e32 v10, 3, v54
	v_add_co_u32_e32 v6, vcc, v6, v10
	v_addc_co_u32_e32 v7, vcc, 0, v7, vcc
	s_waitcnt lgkmcnt(0)
	global_store_dwordx2 v[6:7], v[8:9], off
	s_or_b64 exec, exec, s[0:1]
	s_and_saveexec_b64 s[0:1], s[48:49]
	s_cbranch_execnz .LBB12_127
	s_branch .LBB12_128
	.section	.rodata,"a",@progbits
	.p2align	6, 0x0
	.amdhsa_kernel _ZN7rocprim17ROCPRIM_304000_NS6detail25onesweep_iteration_kernelINS1_34wrapped_radix_sort_onesweep_configINS0_14default_configE12hip_bfloat16N2at4cuda3cub6detail10OpaqueTypeILi8EEEEELb1EPS5_SD_PSB_SE_mNS0_19identity_decomposerEEEvT1_T2_T3_T4_jPT5_SL_PNS1_23onesweep_lookback_stateET6_jjj
		.amdhsa_group_segment_fixed_size 26624
		.amdhsa_private_segment_fixed_size 0
		.amdhsa_kernarg_size 336
		.amdhsa_user_sgpr_count 6
		.amdhsa_user_sgpr_private_segment_buffer 1
		.amdhsa_user_sgpr_dispatch_ptr 0
		.amdhsa_user_sgpr_queue_ptr 0
		.amdhsa_user_sgpr_kernarg_segment_ptr 1
		.amdhsa_user_sgpr_dispatch_id 0
		.amdhsa_user_sgpr_flat_scratch_init 0
		.amdhsa_user_sgpr_kernarg_preload_length 0
		.amdhsa_user_sgpr_kernarg_preload_offset 0
		.amdhsa_user_sgpr_private_segment_size 0
		.amdhsa_uses_dynamic_stack 0
		.amdhsa_system_sgpr_private_segment_wavefront_offset 0
		.amdhsa_system_sgpr_workgroup_id_x 1
		.amdhsa_system_sgpr_workgroup_id_y 0
		.amdhsa_system_sgpr_workgroup_id_z 0
		.amdhsa_system_sgpr_workgroup_info 0
		.amdhsa_system_vgpr_workitem_id 2
		.amdhsa_next_free_vgpr 67
		.amdhsa_next_free_sgpr 75
		.amdhsa_accum_offset 68
		.amdhsa_reserve_vcc 1
		.amdhsa_reserve_flat_scratch 0
		.amdhsa_float_round_mode_32 0
		.amdhsa_float_round_mode_16_64 0
		.amdhsa_float_denorm_mode_32 3
		.amdhsa_float_denorm_mode_16_64 3
		.amdhsa_dx10_clamp 1
		.amdhsa_ieee_mode 1
		.amdhsa_fp16_overflow 0
		.amdhsa_tg_split 0
		.amdhsa_exception_fp_ieee_invalid_op 0
		.amdhsa_exception_fp_denorm_src 0
		.amdhsa_exception_fp_ieee_div_zero 0
		.amdhsa_exception_fp_ieee_overflow 0
		.amdhsa_exception_fp_ieee_underflow 0
		.amdhsa_exception_fp_ieee_inexact 0
		.amdhsa_exception_int_div_zero 0
	.end_amdhsa_kernel
	.section	.text._ZN7rocprim17ROCPRIM_304000_NS6detail25onesweep_iteration_kernelINS1_34wrapped_radix_sort_onesweep_configINS0_14default_configE12hip_bfloat16N2at4cuda3cub6detail10OpaqueTypeILi8EEEEELb1EPS5_SD_PSB_SE_mNS0_19identity_decomposerEEEvT1_T2_T3_T4_jPT5_SL_PNS1_23onesweep_lookback_stateET6_jjj,"axG",@progbits,_ZN7rocprim17ROCPRIM_304000_NS6detail25onesweep_iteration_kernelINS1_34wrapped_radix_sort_onesweep_configINS0_14default_configE12hip_bfloat16N2at4cuda3cub6detail10OpaqueTypeILi8EEEEELb1EPS5_SD_PSB_SE_mNS0_19identity_decomposerEEEvT1_T2_T3_T4_jPT5_SL_PNS1_23onesweep_lookback_stateET6_jjj,comdat
.Lfunc_end12:
	.size	_ZN7rocprim17ROCPRIM_304000_NS6detail25onesweep_iteration_kernelINS1_34wrapped_radix_sort_onesweep_configINS0_14default_configE12hip_bfloat16N2at4cuda3cub6detail10OpaqueTypeILi8EEEEELb1EPS5_SD_PSB_SE_mNS0_19identity_decomposerEEEvT1_T2_T3_T4_jPT5_SL_PNS1_23onesweep_lookback_stateET6_jjj, .Lfunc_end12-_ZN7rocprim17ROCPRIM_304000_NS6detail25onesweep_iteration_kernelINS1_34wrapped_radix_sort_onesweep_configINS0_14default_configE12hip_bfloat16N2at4cuda3cub6detail10OpaqueTypeILi8EEEEELb1EPS5_SD_PSB_SE_mNS0_19identity_decomposerEEEvT1_T2_T3_T4_jPT5_SL_PNS1_23onesweep_lookback_stateET6_jjj
                                        ; -- End function
	.section	.AMDGPU.csdata,"",@progbits
; Kernel info:
; codeLenInByte = 21016
; NumSgprs: 79
; NumVgprs: 67
; NumAgprs: 0
; TotalNumVgprs: 67
; ScratchSize: 0
; MemoryBound: 0
; FloatMode: 240
; IeeeMode: 1
; LDSByteSize: 26624 bytes/workgroup (compile time only)
; SGPRBlocks: 9
; VGPRBlocks: 8
; NumSGPRsForWavesPerEU: 79
; NumVGPRsForWavesPerEU: 67
; AccumOffset: 68
; Occupancy: 2
; WaveLimiterHint : 1
; COMPUTE_PGM_RSRC2:SCRATCH_EN: 0
; COMPUTE_PGM_RSRC2:USER_SGPR: 6
; COMPUTE_PGM_RSRC2:TRAP_HANDLER: 0
; COMPUTE_PGM_RSRC2:TGID_X_EN: 1
; COMPUTE_PGM_RSRC2:TGID_Y_EN: 0
; COMPUTE_PGM_RSRC2:TGID_Z_EN: 0
; COMPUTE_PGM_RSRC2:TIDIG_COMP_CNT: 2
; COMPUTE_PGM_RSRC3_GFX90A:ACCUM_OFFSET: 16
; COMPUTE_PGM_RSRC3_GFX90A:TG_SPLIT: 0
	.section	.text._ZN7rocprim17ROCPRIM_304000_NS6detail28radix_sort_block_sort_kernelINS1_36wrapped_radix_sort_block_sort_configINS0_13kernel_configILj256ELj4ELj4294967295EEE12hip_bfloat16N2at4cuda3cub6detail10OpaqueTypeILi8EEEEELb0EPKS6_PS6_PKSC_PSC_NS0_19identity_decomposerEEEvT1_T2_T3_T4_jT5_jj,"axG",@progbits,_ZN7rocprim17ROCPRIM_304000_NS6detail28radix_sort_block_sort_kernelINS1_36wrapped_radix_sort_block_sort_configINS0_13kernel_configILj256ELj4ELj4294967295EEE12hip_bfloat16N2at4cuda3cub6detail10OpaqueTypeILi8EEEEELb0EPKS6_PS6_PKSC_PSC_NS0_19identity_decomposerEEEvT1_T2_T3_T4_jT5_jj,comdat
	.protected	_ZN7rocprim17ROCPRIM_304000_NS6detail28radix_sort_block_sort_kernelINS1_36wrapped_radix_sort_block_sort_configINS0_13kernel_configILj256ELj4ELj4294967295EEE12hip_bfloat16N2at4cuda3cub6detail10OpaqueTypeILi8EEEEELb0EPKS6_PS6_PKSC_PSC_NS0_19identity_decomposerEEEvT1_T2_T3_T4_jT5_jj ; -- Begin function _ZN7rocprim17ROCPRIM_304000_NS6detail28radix_sort_block_sort_kernelINS1_36wrapped_radix_sort_block_sort_configINS0_13kernel_configILj256ELj4ELj4294967295EEE12hip_bfloat16N2at4cuda3cub6detail10OpaqueTypeILi8EEEEELb0EPKS6_PS6_PKSC_PSC_NS0_19identity_decomposerEEEvT1_T2_T3_T4_jT5_jj
	.globl	_ZN7rocprim17ROCPRIM_304000_NS6detail28radix_sort_block_sort_kernelINS1_36wrapped_radix_sort_block_sort_configINS0_13kernel_configILj256ELj4ELj4294967295EEE12hip_bfloat16N2at4cuda3cub6detail10OpaqueTypeILi8EEEEELb0EPKS6_PS6_PKSC_PSC_NS0_19identity_decomposerEEEvT1_T2_T3_T4_jT5_jj
	.p2align	8
	.type	_ZN7rocprim17ROCPRIM_304000_NS6detail28radix_sort_block_sort_kernelINS1_36wrapped_radix_sort_block_sort_configINS0_13kernel_configILj256ELj4ELj4294967295EEE12hip_bfloat16N2at4cuda3cub6detail10OpaqueTypeILi8EEEEELb0EPKS6_PS6_PKSC_PSC_NS0_19identity_decomposerEEEvT1_T2_T3_T4_jT5_jj,@function
_ZN7rocprim17ROCPRIM_304000_NS6detail28radix_sort_block_sort_kernelINS1_36wrapped_radix_sort_block_sort_configINS0_13kernel_configILj256ELj4ELj4294967295EEE12hip_bfloat16N2at4cuda3cub6detail10OpaqueTypeILi8EEEEELb0EPKS6_PS6_PKSC_PSC_NS0_19identity_decomposerEEEvT1_T2_T3_T4_jT5_jj: ; @_ZN7rocprim17ROCPRIM_304000_NS6detail28radix_sort_block_sort_kernelINS1_36wrapped_radix_sort_block_sort_configINS0_13kernel_configILj256ELj4ELj4294967295EEE12hip_bfloat16N2at4cuda3cub6detail10OpaqueTypeILi8EEEEELb0EPKS6_PS6_PKSC_PSC_NS0_19identity_decomposerEEEvT1_T2_T3_T4_jT5_jj
; %bb.0:
	s_load_dword s2, s[4:5], 0x20
	s_load_dwordx8 s[36:43], s[4:5], 0x0
	s_lshl_b32 s28, s6, 10
	s_mov_b32 s29, 0
	v_mbcnt_lo_u32_b32 v1, -1, 0
	s_waitcnt lgkmcnt(0)
	s_lshr_b32 s0, s2, 10
	s_cmp_lg_u32 s6, s0
	s_cselect_b64 s[30:31], -1, 0
	s_lshl_b64 s[34:35], s[28:29], 1
	v_and_b32_e32 v8, 0x3ff, v0
	s_add_u32 s1, s36, s34
	v_mbcnt_hi_u32_b32 v1, -1, v1
	s_addc_u32 s3, s37, s35
	v_lshlrev_b32_e32 v6, 2, v8
	v_lshlrev_b32_e32 v2, 1, v1
	v_and_b32_e32 v7, 0x300, v6
	v_mov_b32_e32 v3, s3
	v_add_co_u32_e32 v2, vcc, s1, v2
	v_addc_co_u32_e32 v3, vcc, 0, v3, vcc
	v_lshlrev_b32_e32 v4, 1, v7
	v_add_co_u32_e32 v4, vcc, v2, v4
	s_cmp_eq_u32 s6, s0
	v_addc_co_u32_e32 v5, vcc, 0, v3, vcc
	v_lshlrev_b32_e32 v17, 3, v1
	v_lshlrev_b32_e32 v16, 3, v7
	v_add_u32_e32 v9, v1, v7
	s_cbranch_scc1 .LBB13_2
; %bb.1:
	s_lshl_b64 s[0:1], s[28:29], 3
	s_add_u32 s0, s40, s0
	s_addc_u32 s1, s41, s1
	v_mov_b32_e32 v2, s1
	v_add_co_u32_e32 v3, vcc, s0, v17
	v_addc_co_u32_e32 v2, vcc, 0, v2, vcc
	v_add_co_u32_e32 v18, vcc, v3, v16
	v_addc_co_u32_e32 v19, vcc, 0, v2, vcc
	global_load_ushort v12, v[4:5], off
	global_load_ushort v10, v[4:5], off offset:128
	global_load_ushort v15, v[4:5], off offset:256
	;; [unrolled: 1-line block ×3, first 2 shown]
	global_load_dwordx2 v[2:3], v[18:19], off
	global_load_dwordx2 v[20:21], v[18:19], off offset:512
	global_load_dwordx2 v[22:23], v[18:19], off offset:1024
	global_load_dwordx2 v[24:25], v[18:19], off offset:1536
	v_add_u32_e32 v18, v1, v7
	v_add_u32_e32 v7, 64, v18
	;; [unrolled: 1-line block ×4, first 2 shown]
	s_sub_i32 s33, s2, s28
	s_cbranch_execz .LBB13_3
	s_branch .LBB13_17
.LBB13_2:
                                        ; implicit-def: $vgpr2_vgpr3
                                        ; implicit-def: $vgpr20_vgpr21
                                        ; implicit-def: $vgpr22_vgpr23
                                        ; implicit-def: $vgpr24_vgpr25
                                        ; implicit-def: $vgpr12
                                        ; implicit-def: $vgpr10
                                        ; implicit-def: $vgpr15
                                        ; implicit-def: $vgpr14
                                        ; implicit-def: $vgpr18
                                        ; implicit-def: $vgpr7
                                        ; implicit-def: $vgpr11
                                        ; implicit-def: $vgpr13
	s_sub_i32 s33, s2, s28
.LBB13_3:
	v_cmp_gt_u32_e32 vcc, s33, v9
	s_waitcnt vmcnt(6)
	v_mov_b32_e32 v10, 0x7fff
	v_mov_b32_e32 v12, 0x7fff
	s_and_saveexec_b64 s[0:1], vcc
	s_cbranch_execz .LBB13_5
; %bb.4:
	global_load_ushort v12, v[4:5], off
.LBB13_5:
	s_or_b64 exec, exec, s[0:1]
	v_add_u32_e32 v7, 64, v9
	v_cmp_gt_u32_e64 s[0:1], s33, v7
	s_and_saveexec_b64 s[2:3], s[0:1]
	s_cbranch_execz .LBB13_7
; %bb.6:
	global_load_ushort v10, v[4:5], off offset:128
.LBB13_7:
	s_or_b64 exec, exec, s[2:3]
	v_add_u32_e32 v11, 0x80, v9
	v_cmp_gt_u32_e64 s[2:3], s33, v11
	s_waitcnt vmcnt(4)
	v_mov_b32_e32 v14, 0x7fff
	v_mov_b32_e32 v15, 0x7fff
	s_and_saveexec_b64 s[6:7], s[2:3]
	s_cbranch_execz .LBB13_9
; %bb.8:
	global_load_ushort v15, v[4:5], off offset:256
.LBB13_9:
	s_or_b64 exec, exec, s[6:7]
	v_add_u32_e32 v13, 0xc0, v9
	v_cmp_gt_u32_e64 s[6:7], s33, v13
	s_and_saveexec_b64 s[8:9], s[6:7]
	s_cbranch_execz .LBB13_11
; %bb.10:
	global_load_ushort v14, v[4:5], off offset:384
.LBB13_11:
	s_or_b64 exec, exec, s[8:9]
	s_lshl_b64 s[8:9], s[28:29], 3
	s_add_u32 s8, s40, s8
	s_addc_u32 s9, s41, s9
	s_waitcnt vmcnt(3)
	v_mov_b32_e32 v2, s9
	v_add_co_u32_e64 v3, s[8:9], s8, v17
	v_addc_co_u32_e64 v2, s[8:9], 0, v2, s[8:9]
	v_add_co_u32_e64 v4, s[8:9], v3, v16
	v_addc_co_u32_e64 v5, s[8:9], 0, v2, s[8:9]
                                        ; implicit-def: $vgpr2_vgpr3
	s_and_saveexec_b64 s[8:9], vcc
	s_cbranch_execnz .LBB13_54
; %bb.12:
	s_or_b64 exec, exec, s[8:9]
                                        ; implicit-def: $vgpr20_vgpr21
	s_and_saveexec_b64 s[8:9], s[0:1]
	s_cbranch_execnz .LBB13_55
.LBB13_13:
	s_or_b64 exec, exec, s[8:9]
                                        ; implicit-def: $vgpr22_vgpr23
	s_and_saveexec_b64 s[0:1], s[2:3]
	s_cbranch_execnz .LBB13_56
.LBB13_14:
	s_or_b64 exec, exec, s[0:1]
                                        ; implicit-def: $vgpr24_vgpr25
	s_and_saveexec_b64 s[0:1], s[6:7]
	s_cbranch_execz .LBB13_16
.LBB13_15:
	global_load_dwordx2 v[24:25], v[4:5], off offset:1536
.LBB13_16:
	s_or_b64 exec, exec, s[0:1]
	v_mov_b32_e32 v18, v9
.LBB13_17:
	s_load_dwordx2 s[36:37], s[4:5], 0x28
	s_load_dword s0, s[4:5], 0x3c
	v_mov_b32_e32 v9, 0xffff8000
	s_waitcnt vmcnt(0)
	v_cmp_lt_i16_e32 vcc, -1, v12
	v_cndmask_b32_e32 v4, -1, v9, vcc
	v_cmp_lt_i16_e32 vcc, -1, v10
	v_xor_b32_e32 v19, v4, v12
	v_cndmask_b32_e32 v4, -1, v9, vcc
	v_cmp_lt_i16_e32 vcc, -1, v15
	v_xor_b32_e32 v47, v4, v10
	;; [unrolled: 3-line block ×3, first 2 shown]
	v_cndmask_b32_e32 v4, -1, v9, vcc
	v_xor_b32_e32 v49, v4, v14
	s_waitcnt lgkmcnt(0)
	s_lshr_b32 s1, s0, 16
	v_bfe_u32 v4, v0, 10, 10
	v_bfe_u32 v0, v0, 20, 10
	s_and_b32 s0, s0, 0xffff
	v_mad_u32_u24 v0, v0, s1, v4
	v_mad_u64_u32 v[4:5], s[0:1], v0, s0, v[8:9]
	v_and_b32_e32 v0, 15, v1
	v_cmp_eq_u32_e64 s[0:1], 0, v0
	v_cmp_lt_u32_e64 s[2:3], 1, v0
	v_cmp_lt_u32_e64 s[4:5], 3, v0
	v_cmp_lt_u32_e64 s[6:7], 7, v0
	v_and_b32_e32 v0, 16, v1
	v_cmp_eq_u32_e64 s[8:9], 0, v0
	v_and_b32_e32 v0, 0x3c0, v8
	v_min_u32_e32 v0, 0xc0, v0
	v_or_b32_e32 v0, 63, v0
	v_lshrrev_b32_e32 v29, 6, v4
	v_cmp_eq_u32_e64 s[12:13], v0, v8
	v_add_u32_e32 v0, -1, v1
	v_and_b32_e32 v4, 64, v1
	v_cmp_lt_i32_e32 vcc, v0, v4
	v_cndmask_b32_e32 v0, v0, v1, vcc
	s_mov_b32 s26, 0
	v_cmp_lt_u32_e64 s[10:11], 31, v1
	v_lshlrev_b32_e32 v31, 2, v0
	v_cmp_eq_u32_e64 s[18:19], 0, v1
	v_lshrrev_b32_e32 v0, 4, v8
	v_and_b32_e32 v1, 3, v1
	v_lshlrev_b32_e32 v27, 2, v6
	v_and_b32_e32 v32, 60, v0
	v_mul_i32_i24_e32 v0, -12, v8
	v_cmp_eq_u32_e64 s[22:23], 0, v1
	v_cmp_lt_u32_e64 s[24:25], 1, v1
	v_lshlrev_b32_e32 v34, 1, v18
	v_lshlrev_b32_e32 v35, 1, v7
	;; [unrolled: 1-line block ×4, first 2 shown]
	v_mul_lo_u32 v1, v18, 6
	v_mul_lo_u32 v4, v7, 6
	;; [unrolled: 1-line block ×4, first 2 shown]
	s_mov_b32 s27, s26
	s_mov_b32 s44, s26
	;; [unrolled: 1-line block ×3, first 2 shown]
	s_add_i32 s40, s37, s36
	v_cmp_gt_u32_e64 s[14:15], 4, v8
	v_cmp_lt_u32_e64 s[16:17], 63, v8
	v_cmp_eq_u32_e64 s[20:21], 0, v8
	v_add_u32_e32 v33, -4, v32
	v_pk_mov_b32 v[14:15], s[26:27], s[26:27] op_sel:[0,1]
	v_pk_mov_b32 v[16:17], s[44:45], s[44:45] op_sel:[0,1]
	s_movk_i32 s41, 0x7fff
	v_add_u32_e32 v38, v27, v0
	v_add_u32_e32 v39, v34, v1
	;; [unrolled: 1-line block ×5, first 2 shown]
	v_mov_b32_e32 v18, 0
	s_branch .LBB13_19
.LBB13_18:                              ;   in Loop: Header=BB13_19 Depth=1
	v_mad_u64_u32 v[2:3], s[26:27], v52, 6, v[30:31]
	s_barrier
	ds_write_b16 v30, v46
	ds_write_b16 v28, v45
	;; [unrolled: 1-line block ×4, first 2 shown]
	s_waitcnt lgkmcnt(0)
	s_barrier
	ds_read_u16 v19, v34
	ds_read_u16 v47, v35
	;; [unrolled: 1-line block ×4, first 2 shown]
	s_waitcnt lgkmcnt(0)
	s_barrier
	ds_write_b64 v2, v[12:13]
	v_mad_u64_u32 v[2:3], s[26:27], v51, 6, v[28:29]
	ds_write_b64 v2, v[10:11]
	v_mad_u64_u32 v[2:3], s[26:27], v50, 6, v[26:27]
	;; [unrolled: 2-line block ×3, first 2 shown]
	ds_write_b64 v2, v[4:5]
	s_waitcnt lgkmcnt(0)
	s_barrier
	ds_read_b64 v[2:3], v39
	ds_read_b64 v[20:21], v40
	;; [unrolled: 1-line block ×4, first 2 shown]
	s_add_i32 s37, s37, -8
	s_waitcnt lgkmcnt(0)
	s_barrier
	s_cbranch_execz .LBB13_35
.LBB13_19:                              ; =>This Inner Loop Header: Depth=1
	v_mov_b32_e32 v46, v19
	s_min_u32 s26, s37, 8
	v_cmp_ne_u16_e32 vcc, s41, v46
	s_lshl_b32 s26, -1, s26
	v_cndmask_b32_e32 v0, v9, v46, vcc
	s_not_b32 s44, s26
	v_lshrrev_b32_sdwa v0, s36, v0 dst_sel:DWORD dst_unused:UNUSED_PAD src0_sel:DWORD src1_sel:WORD_0
	v_and_b32_e32 v0, s44, v0
	v_lshl_add_u32 v1, v0, 2, v29
	v_pk_mov_b32 v[10:11], v[20:21], v[20:21] op_sel:[0,1]
	v_lshl_add_u32 v20, v1, 2, 16
	v_and_b32_e32 v1, 1, v0
	v_pk_mov_b32 v[12:13], v[2:3], v[2:3] op_sel:[0,1]
	v_add_co_u32_e32 v2, vcc, -1, v1
	v_addc_co_u32_e64 v3, s[26:27], 0, -1, vcc
	v_cmp_ne_u32_e32 vcc, 0, v1
	v_lshlrev_b32_e32 v19, 30, v0
	v_xor_b32_e32 v1, vcc_hi, v3
	v_not_b32_e32 v3, v19
	v_xor_b32_e32 v2, vcc_lo, v2
	v_cmp_gt_i64_e32 vcc, 0, v[18:19]
	v_ashrrev_i32_e32 v3, 31, v3
	v_and_b32_e32 v1, exec_hi, v1
	v_xor_b32_e32 v19, vcc_hi, v3
	v_and_b32_e32 v2, exec_lo, v2
	v_xor_b32_e32 v3, vcc_lo, v3
	v_and_b32_e32 v1, v1, v19
	v_lshlrev_b32_e32 v19, 29, v0
	v_and_b32_e32 v2, v2, v3
	v_not_b32_e32 v3, v19
	v_cmp_gt_i64_e32 vcc, 0, v[18:19]
	v_ashrrev_i32_e32 v3, 31, v3
	v_xor_b32_e32 v19, vcc_hi, v3
	v_xor_b32_e32 v3, vcc_lo, v3
	v_and_b32_e32 v1, v1, v19
	v_lshlrev_b32_e32 v19, 28, v0
	v_and_b32_e32 v2, v2, v3
	v_not_b32_e32 v3, v19
	v_cmp_gt_i64_e32 vcc, 0, v[18:19]
	v_ashrrev_i32_e32 v3, 31, v3
	v_xor_b32_e32 v19, vcc_hi, v3
	;; [unrolled: 8-line block ×5, first 2 shown]
	v_and_b32_e32 v1, v1, v19
	v_lshlrev_b32_e32 v19, 24, v0
	v_not_b32_e32 v0, v19
	v_xor_b32_e32 v3, vcc_lo, v3
	v_cmp_gt_i64_e32 vcc, 0, v[18:19]
	v_ashrrev_i32_e32 v0, 31, v0
	v_and_b32_e32 v2, v2, v3
	v_xor_b32_e32 v3, vcc_hi, v0
	v_xor_b32_e32 v0, vcc_lo, v0
	v_and_b32_e32 v0, v2, v0
	v_and_b32_e32 v1, v1, v3
	v_mbcnt_lo_u32_b32 v2, v0, 0
	v_mbcnt_hi_u32_b32 v21, v1, v2
	v_cmp_eq_u32_e32 vcc, 0, v21
	v_cmp_ne_u64_e64 s[26:27], 0, v[0:1]
	v_pk_mov_b32 v[6:7], v[22:23], v[22:23] op_sel:[0,1]
	v_pk_mov_b32 v[4:5], v[24:25], v[24:25] op_sel:[0,1]
	v_mov_b32_e32 v45, v47
	v_mov_b32_e32 v44, v48
	;; [unrolled: 1-line block ×3, first 2 shown]
	s_and_b64 s[46:47], s[26:27], vcc
	ds_write2_b64 v27, v[14:15], v[16:17] offset0:2 offset1:3
	s_waitcnt lgkmcnt(0)
	s_barrier
	s_waitcnt lgkmcnt(0)
	; wave barrier
	s_and_saveexec_b64 s[26:27], s[46:47]
	s_cbranch_execz .LBB13_21
; %bb.20:                               ;   in Loop: Header=BB13_19 Depth=1
	v_bcnt_u32_b32 v0, v0, 0
	v_bcnt_u32_b32 v0, v1, v0
	ds_write_b32 v20, v0
.LBB13_21:                              ;   in Loop: Header=BB13_19 Depth=1
	s_or_b64 exec, exec, s[26:27]
	v_cmp_ne_u16_e32 vcc, s41, v45
	v_cndmask_b32_e32 v0, v9, v45, vcc
	v_lshrrev_b32_sdwa v0, s36, v0 dst_sel:DWORD dst_unused:UNUSED_PAD src0_sel:DWORD src1_sel:WORD_0
	v_and_b32_e32 v0, s44, v0
	v_lshlrev_b32_e32 v1, 2, v0
	v_add_lshl_u32 v1, v1, v29, 2
	; wave barrier
	v_add_u32_e32 v23, 16, v1
	ds_read_b32 v22, v1 offset:16
	v_and_b32_e32 v1, 1, v0
	v_add_co_u32_e32 v2, vcc, -1, v1
	v_addc_co_u32_e64 v3, s[26:27], 0, -1, vcc
	v_cmp_ne_u32_e32 vcc, 0, v1
	v_lshlrev_b32_e32 v19, 30, v0
	v_xor_b32_e32 v1, vcc_hi, v3
	v_not_b32_e32 v3, v19
	v_xor_b32_e32 v2, vcc_lo, v2
	v_cmp_gt_i64_e32 vcc, 0, v[18:19]
	v_ashrrev_i32_e32 v3, 31, v3
	v_and_b32_e32 v1, exec_hi, v1
	v_xor_b32_e32 v19, vcc_hi, v3
	v_and_b32_e32 v2, exec_lo, v2
	v_xor_b32_e32 v3, vcc_lo, v3
	v_and_b32_e32 v1, v1, v19
	v_lshlrev_b32_e32 v19, 29, v0
	v_and_b32_e32 v2, v2, v3
	v_not_b32_e32 v3, v19
	v_cmp_gt_i64_e32 vcc, 0, v[18:19]
	v_ashrrev_i32_e32 v3, 31, v3
	v_xor_b32_e32 v19, vcc_hi, v3
	v_xor_b32_e32 v3, vcc_lo, v3
	v_and_b32_e32 v1, v1, v19
	v_lshlrev_b32_e32 v19, 28, v0
	v_and_b32_e32 v2, v2, v3
	v_not_b32_e32 v3, v19
	v_cmp_gt_i64_e32 vcc, 0, v[18:19]
	v_ashrrev_i32_e32 v3, 31, v3
	v_xor_b32_e32 v19, vcc_hi, v3
	;; [unrolled: 8-line block ×5, first 2 shown]
	v_and_b32_e32 v1, v1, v19
	v_lshlrev_b32_e32 v19, 24, v0
	v_not_b32_e32 v0, v19
	v_xor_b32_e32 v3, vcc_lo, v3
	v_cmp_gt_i64_e32 vcc, 0, v[18:19]
	v_ashrrev_i32_e32 v0, 31, v0
	v_and_b32_e32 v2, v2, v3
	v_xor_b32_e32 v3, vcc_hi, v0
	v_xor_b32_e32 v0, vcc_lo, v0
	v_and_b32_e32 v0, v2, v0
	v_and_b32_e32 v1, v1, v3
	v_mbcnt_lo_u32_b32 v2, v0, 0
	v_mbcnt_hi_u32_b32 v24, v1, v2
	v_cmp_eq_u32_e32 vcc, 0, v24
	v_cmp_ne_u64_e64 s[26:27], 0, v[0:1]
	s_and_b64 s[46:47], s[26:27], vcc
	; wave barrier
	s_and_saveexec_b64 s[26:27], s[46:47]
	s_cbranch_execz .LBB13_23
; %bb.22:                               ;   in Loop: Header=BB13_19 Depth=1
	v_bcnt_u32_b32 v0, v0, 0
	v_bcnt_u32_b32 v0, v1, v0
	s_waitcnt lgkmcnt(0)
	v_add_u32_e32 v0, v22, v0
	ds_write_b32 v23, v0
.LBB13_23:                              ;   in Loop: Header=BB13_19 Depth=1
	s_or_b64 exec, exec, s[26:27]
	v_cmp_ne_u16_e32 vcc, s41, v44
	v_cndmask_b32_e32 v0, v9, v44, vcc
	v_lshrrev_b32_sdwa v0, s36, v0 dst_sel:DWORD dst_unused:UNUSED_PAD src0_sel:DWORD src1_sel:WORD_0
	v_and_b32_e32 v0, s44, v0
	v_lshlrev_b32_e32 v1, 2, v0
	v_add_lshl_u32 v1, v1, v29, 2
	; wave barrier
	v_add_u32_e32 v26, 16, v1
	ds_read_b32 v25, v1 offset:16
	v_and_b32_e32 v1, 1, v0
	v_add_co_u32_e32 v2, vcc, -1, v1
	v_addc_co_u32_e64 v3, s[26:27], 0, -1, vcc
	v_cmp_ne_u32_e32 vcc, 0, v1
	v_lshlrev_b32_e32 v19, 30, v0
	v_xor_b32_e32 v1, vcc_hi, v3
	v_not_b32_e32 v3, v19
	v_xor_b32_e32 v2, vcc_lo, v2
	v_cmp_gt_i64_e32 vcc, 0, v[18:19]
	v_ashrrev_i32_e32 v3, 31, v3
	v_and_b32_e32 v1, exec_hi, v1
	v_xor_b32_e32 v19, vcc_hi, v3
	v_and_b32_e32 v2, exec_lo, v2
	v_xor_b32_e32 v3, vcc_lo, v3
	v_and_b32_e32 v1, v1, v19
	v_lshlrev_b32_e32 v19, 29, v0
	v_and_b32_e32 v2, v2, v3
	v_not_b32_e32 v3, v19
	v_cmp_gt_i64_e32 vcc, 0, v[18:19]
	v_ashrrev_i32_e32 v3, 31, v3
	v_xor_b32_e32 v19, vcc_hi, v3
	v_xor_b32_e32 v3, vcc_lo, v3
	v_and_b32_e32 v1, v1, v19
	v_lshlrev_b32_e32 v19, 28, v0
	v_and_b32_e32 v2, v2, v3
	v_not_b32_e32 v3, v19
	v_cmp_gt_i64_e32 vcc, 0, v[18:19]
	v_ashrrev_i32_e32 v3, 31, v3
	v_xor_b32_e32 v19, vcc_hi, v3
	;; [unrolled: 8-line block ×5, first 2 shown]
	v_and_b32_e32 v1, v1, v19
	v_lshlrev_b32_e32 v19, 24, v0
	v_not_b32_e32 v0, v19
	v_xor_b32_e32 v3, vcc_lo, v3
	v_cmp_gt_i64_e32 vcc, 0, v[18:19]
	v_ashrrev_i32_e32 v0, 31, v0
	v_and_b32_e32 v2, v2, v3
	v_xor_b32_e32 v3, vcc_hi, v0
	v_xor_b32_e32 v0, vcc_lo, v0
	v_and_b32_e32 v0, v2, v0
	v_and_b32_e32 v1, v1, v3
	v_mbcnt_lo_u32_b32 v2, v0, 0
	v_mbcnt_hi_u32_b32 v28, v1, v2
	v_cmp_eq_u32_e32 vcc, 0, v28
	v_cmp_ne_u64_e64 s[26:27], 0, v[0:1]
	s_and_b64 s[46:47], s[26:27], vcc
	; wave barrier
	s_and_saveexec_b64 s[26:27], s[46:47]
	s_cbranch_execz .LBB13_25
; %bb.24:                               ;   in Loop: Header=BB13_19 Depth=1
	v_bcnt_u32_b32 v0, v0, 0
	v_bcnt_u32_b32 v0, v1, v0
	s_waitcnt lgkmcnt(0)
	v_add_u32_e32 v0, v25, v0
	ds_write_b32 v26, v0
.LBB13_25:                              ;   in Loop: Header=BB13_19 Depth=1
	s_or_b64 exec, exec, s[26:27]
	v_cmp_ne_u16_e32 vcc, s41, v43
	v_cndmask_b32_e32 v0, v9, v43, vcc
	v_lshrrev_b32_sdwa v0, s36, v0 dst_sel:DWORD dst_unused:UNUSED_PAD src0_sel:DWORD src1_sel:WORD_0
	v_and_b32_e32 v0, s44, v0
	v_lshlrev_b32_e32 v1, 2, v0
	v_add_lshl_u32 v1, v1, v29, 2
	; wave barrier
	v_add_u32_e32 v47, 16, v1
	ds_read_b32 v30, v1 offset:16
	v_and_b32_e32 v1, 1, v0
	v_add_co_u32_e32 v2, vcc, -1, v1
	v_addc_co_u32_e64 v3, s[26:27], 0, -1, vcc
	v_cmp_ne_u32_e32 vcc, 0, v1
	v_lshlrev_b32_e32 v19, 30, v0
	v_xor_b32_e32 v1, vcc_hi, v3
	v_not_b32_e32 v3, v19
	v_xor_b32_e32 v2, vcc_lo, v2
	v_cmp_gt_i64_e32 vcc, 0, v[18:19]
	v_ashrrev_i32_e32 v3, 31, v3
	v_and_b32_e32 v1, exec_hi, v1
	v_xor_b32_e32 v19, vcc_hi, v3
	v_and_b32_e32 v2, exec_lo, v2
	v_xor_b32_e32 v3, vcc_lo, v3
	v_and_b32_e32 v1, v1, v19
	v_lshlrev_b32_e32 v19, 29, v0
	v_and_b32_e32 v2, v2, v3
	v_not_b32_e32 v3, v19
	v_cmp_gt_i64_e32 vcc, 0, v[18:19]
	v_ashrrev_i32_e32 v3, 31, v3
	v_xor_b32_e32 v19, vcc_hi, v3
	v_xor_b32_e32 v3, vcc_lo, v3
	v_and_b32_e32 v1, v1, v19
	v_lshlrev_b32_e32 v19, 28, v0
	v_and_b32_e32 v2, v2, v3
	v_not_b32_e32 v3, v19
	v_cmp_gt_i64_e32 vcc, 0, v[18:19]
	v_ashrrev_i32_e32 v3, 31, v3
	v_xor_b32_e32 v19, vcc_hi, v3
	;; [unrolled: 8-line block ×5, first 2 shown]
	v_and_b32_e32 v1, v1, v19
	v_lshlrev_b32_e32 v19, 24, v0
	v_not_b32_e32 v0, v19
	v_xor_b32_e32 v3, vcc_lo, v3
	v_cmp_gt_i64_e32 vcc, 0, v[18:19]
	v_ashrrev_i32_e32 v0, 31, v0
	v_and_b32_e32 v2, v2, v3
	v_xor_b32_e32 v3, vcc_hi, v0
	v_xor_b32_e32 v0, vcc_lo, v0
	v_and_b32_e32 v0, v2, v0
	v_and_b32_e32 v1, v1, v3
	v_mbcnt_lo_u32_b32 v2, v0, 0
	v_mbcnt_hi_u32_b32 v19, v1, v2
	v_cmp_eq_u32_e32 vcc, 0, v19
	v_cmp_ne_u64_e64 s[26:27], 0, v[0:1]
	s_and_b64 s[44:45], s[26:27], vcc
	; wave barrier
	s_and_saveexec_b64 s[26:27], s[44:45]
	s_cbranch_execz .LBB13_27
; %bb.26:                               ;   in Loop: Header=BB13_19 Depth=1
	v_bcnt_u32_b32 v0, v0, 0
	v_bcnt_u32_b32 v0, v1, v0
	s_waitcnt lgkmcnt(0)
	v_add_u32_e32 v0, v30, v0
	ds_write_b32 v47, v0
.LBB13_27:                              ;   in Loop: Header=BB13_19 Depth=1
	s_or_b64 exec, exec, s[26:27]
	; wave barrier
	s_waitcnt lgkmcnt(0)
	s_barrier
	ds_read2_b64 v[0:3], v27 offset0:2 offset1:3
	s_waitcnt lgkmcnt(0)
	v_add_u32_e32 v48, v1, v0
	v_add3_u32 v3, v48, v2, v3
	s_nop 1
	v_mov_b32_dpp v48, v3 row_shr:1 row_mask:0xf bank_mask:0xf
	v_cndmask_b32_e64 v48, v48, 0, s[0:1]
	v_add_u32_e32 v3, v48, v3
	s_nop 1
	v_mov_b32_dpp v48, v3 row_shr:2 row_mask:0xf bank_mask:0xf
	v_cndmask_b32_e64 v48, 0, v48, s[2:3]
	v_add_u32_e32 v3, v3, v48
	;; [unrolled: 4-line block ×4, first 2 shown]
	s_nop 1
	v_mov_b32_dpp v48, v3 row_bcast:15 row_mask:0xf bank_mask:0xf
	v_cndmask_b32_e64 v48, v48, 0, s[8:9]
	v_add_u32_e32 v3, v3, v48
	s_nop 1
	v_mov_b32_dpp v48, v3 row_bcast:31 row_mask:0xf bank_mask:0xf
	v_cndmask_b32_e64 v48, 0, v48, s[10:11]
	v_add_u32_e32 v3, v3, v48
	s_and_saveexec_b64 s[26:27], s[12:13]
	s_cbranch_execz .LBB13_29
; %bb.28:                               ;   in Loop: Header=BB13_19 Depth=1
	ds_write_b32 v32, v3
.LBB13_29:                              ;   in Loop: Header=BB13_19 Depth=1
	s_or_b64 exec, exec, s[26:27]
	s_waitcnt lgkmcnt(0)
	s_barrier
	s_and_saveexec_b64 s[26:27], s[14:15]
	s_cbranch_execz .LBB13_31
; %bb.30:                               ;   in Loop: Header=BB13_19 Depth=1
	ds_read_b32 v48, v38
	s_waitcnt lgkmcnt(0)
	s_nop 0
	v_mov_b32_dpp v49, v48 row_shr:1 row_mask:0xf bank_mask:0xf
	v_cndmask_b32_e64 v49, v49, 0, s[22:23]
	v_add_u32_e32 v48, v49, v48
	s_nop 1
	v_mov_b32_dpp v49, v48 row_shr:2 row_mask:0xf bank_mask:0xf
	v_cndmask_b32_e64 v49, 0, v49, s[24:25]
	v_add_u32_e32 v48, v48, v49
	ds_write_b32 v38, v48
.LBB13_31:                              ;   in Loop: Header=BB13_19 Depth=1
	s_or_b64 exec, exec, s[26:27]
	v_mov_b32_e32 v48, 0
	s_waitcnt lgkmcnt(0)
	s_barrier
	s_and_saveexec_b64 s[26:27], s[16:17]
	s_cbranch_execz .LBB13_33
; %bb.32:                               ;   in Loop: Header=BB13_19 Depth=1
	ds_read_b32 v48, v33
.LBB13_33:                              ;   in Loop: Header=BB13_19 Depth=1
	s_or_b64 exec, exec, s[26:27]
	s_waitcnt lgkmcnt(0)
	v_add_u32_e32 v3, v48, v3
	ds_bpermute_b32 v3, v31, v3
	s_add_i32 s36, s36, 8
	s_cmp_ge_u32 s36, s40
	s_waitcnt lgkmcnt(0)
	v_cndmask_b32_e64 v3, v3, v48, s[18:19]
	v_cndmask_b32_e64 v48, v3, 0, s[20:21]
	v_add_u32_e32 v49, v48, v0
	v_add_u32_e32 v0, v49, v1
	;; [unrolled: 1-line block ×3, first 2 shown]
	ds_write2_b64 v27, v[48:49], v[0:1] offset0:2 offset1:3
	s_waitcnt lgkmcnt(0)
	s_barrier
	ds_read_b32 v0, v20
	ds_read_b32 v1, v23
	;; [unrolled: 1-line block ×4, first 2 shown]
	s_waitcnt lgkmcnt(0)
	v_add_u32_e32 v52, v0, v21
	v_add3_u32 v51, v24, v22, v1
	v_add3_u32 v50, v28, v25, v2
	;; [unrolled: 1-line block ×3, first 2 shown]
	v_lshlrev_b32_e32 v30, 1, v52
	v_lshlrev_b32_e32 v28, 1, v51
	;; [unrolled: 1-line block ×4, first 2 shown]
	s_cbranch_scc0 .LBB13_18
; %bb.34:
                                        ; implicit-def: $sgpr36
                                        ; implicit-def: $vgpr2_vgpr3
                                        ; implicit-def: $vgpr20_vgpr21
                                        ; implicit-def: $vgpr22_vgpr23
                                        ; implicit-def: $vgpr24_vgpr25
                                        ; implicit-def: $vgpr19
                                        ; implicit-def: $vgpr47
                                        ; implicit-def: $vgpr48
                                        ; implicit-def: $vgpr49
.LBB13_35:
	v_lshlrev_b32_e32 v16, 1, v8
	s_barrier
	ds_write_b16 v30, v46
	ds_write_b16 v28, v45
	;; [unrolled: 1-line block ×4, first 2 shown]
	s_waitcnt lgkmcnt(0)
	s_barrier
	ds_read_u16 v9, v16
	ds_read_u16 v14, v16 offset:512
	ds_read_u16 v17, v16 offset:1024
	;; [unrolled: 1-line block ×3, first 2 shown]
	v_mad_u64_u32 v[2:3], s[0:1], v52, 6, v[30:31]
	s_waitcnt lgkmcnt(0)
	s_barrier
	ds_write_b64 v2, v[12:13]
	v_mad_u64_u32 v[2:3], s[0:1], v51, 6, v[28:29]
	ds_write_b64 v2, v[10:11]
	v_mad_u64_u32 v[2:3], s[0:1], v50, 6, v[26:27]
	v_mad_u64_u32 v[0:1], s[0:1], v1, 6, v[0:1]
	v_mov_b32_e32 v10, 0xffff8000
	v_cmp_lt_i16_e32 vcc, -1, v9
	ds_write_b64 v2, v[6:7]
	ds_write_b64 v0, v[4:5]
	v_mad_u32_u24 v0, v8, 6, v16
	v_cndmask_b32_e64 v11, v10, -1, vcc
	v_cmp_lt_i16_e32 vcc, -1, v14
	s_waitcnt lgkmcnt(0)
	s_barrier
	ds_read2st64_b64 v[4:7], v0 offset1:4
	ds_read2st64_b64 v[0:3], v0 offset0:8 offset1:12
	v_xor_b32_e32 v15, v11, v9
	v_cndmask_b32_e64 v9, v10, -1, vcc
	v_cmp_lt_i16_e32 vcc, -1, v17
	s_add_u32 s0, s38, s34
	v_xor_b32_e32 v14, v9, v14
	v_cndmask_b32_e64 v9, v10, -1, vcc
	v_cmp_lt_i16_e32 vcc, -1, v18
	s_addc_u32 s1, s39, s35
	v_xor_b32_e32 v13, v9, v17
	v_cndmask_b32_e64 v9, v10, -1, vcc
	v_mov_b32_e32 v11, s1
	v_add_co_u32_e32 v10, vcc, s0, v16
	v_addc_co_u32_e32 v11, vcc, 0, v11, vcc
	v_xor_b32_e32 v9, v9, v18
	s_andn2_b64 vcc, exec, s[30:31]
	v_lshlrev_b32_e32 v12, 3, v8
	s_cbranch_vccnz .LBB13_37
; %bb.36:
	s_lshl_b64 s[0:1], s[28:29], 3
	s_add_u32 s0, s42, s0
	s_addc_u32 s1, s43, s1
	v_mov_b32_e32 v16, s1
	v_add_co_u32_e32 v17, vcc, s0, v12
	v_addc_co_u32_e32 v18, vcc, 0, v16, vcc
	v_add_co_u32_e32 v16, vcc, 0x1000, v17
	global_store_short v[10:11], v15, off
	global_store_short v[10:11], v14, off offset:512
	global_store_short v[10:11], v13, off offset:1024
	;; [unrolled: 1-line block ×3, first 2 shown]
	s_waitcnt lgkmcnt(1)
	global_store_dwordx2 v12, v[4:5], s[0:1]
	global_store_dwordx2 v12, v[6:7], s[0:1] offset:2048
	v_addc_co_u32_e32 v17, vcc, 0, v18, vcc
	s_mov_b64 s[6:7], -1
	s_waitcnt lgkmcnt(0)
	global_store_dwordx2 v[16:17], v[0:1], off
	s_cbranch_execz .LBB13_38
	s_branch .LBB13_51
.LBB13_37:
	s_mov_b64 s[6:7], 0
.LBB13_38:
	v_cmp_gt_u32_e32 vcc, s33, v8
	s_and_saveexec_b64 s[0:1], vcc
	s_cbranch_execz .LBB13_40
; %bb.39:
	global_store_short v[10:11], v15, off
.LBB13_40:
	s_or_b64 exec, exec, s[0:1]
	v_add_u32_e32 v15, 0x100, v8
	v_cmp_gt_u32_e64 s[0:1], s33, v15
	s_and_saveexec_b64 s[2:3], s[0:1]
	s_cbranch_execz .LBB13_42
; %bb.41:
	global_store_short v[10:11], v14, off offset:512
.LBB13_42:
	s_or_b64 exec, exec, s[2:3]
	v_add_u32_e32 v14, 0x200, v8
	v_cmp_gt_u32_e64 s[2:3], s33, v14
	s_and_saveexec_b64 s[4:5], s[2:3]
	s_cbranch_execz .LBB13_44
; %bb.43:
	global_store_short v[10:11], v13, off offset:1024
.LBB13_44:
	;; [unrolled: 8-line block ×3, first 2 shown]
	s_or_b64 exec, exec, s[4:5]
	s_lshl_b64 s[4:5], s[28:29], 3
	s_add_u32 s4, s42, s4
	s_addc_u32 s5, s43, s5
	v_mov_b32_e32 v9, s5
	v_add_co_u32_e64 v8, s[4:5], s4, v12
	v_addc_co_u32_e64 v9, s[4:5], 0, v9, s[4:5]
	s_and_saveexec_b64 s[4:5], vcc
	s_cbranch_execnz .LBB13_57
; %bb.47:
	s_or_b64 exec, exec, s[4:5]
	s_and_saveexec_b64 s[4:5], s[0:1]
	s_cbranch_execnz .LBB13_58
.LBB13_48:
	s_or_b64 exec, exec, s[4:5]
	s_and_saveexec_b64 s[0:1], s[2:3]
	s_cbranch_execz .LBB13_50
.LBB13_49:
	s_waitcnt lgkmcnt(1)
	v_add_co_u32_e32 v4, vcc, 0x1000, v8
	v_addc_co_u32_e32 v5, vcc, 0, v9, vcc
	s_waitcnt lgkmcnt(0)
	global_store_dwordx2 v[4:5], v[0:1], off
.LBB13_50:
	s_or_b64 exec, exec, s[0:1]
.LBB13_51:
	s_and_saveexec_b64 s[0:1], s[6:7]
	s_cbranch_execnz .LBB13_53
; %bb.52:
	s_endpgm
.LBB13_53:
	s_lshl_b64 s[0:1], s[28:29], 3
	s_add_u32 s0, s42, s0
	s_addc_u32 s1, s43, s1
	s_waitcnt lgkmcnt(0)
	v_mov_b32_e32 v0, s1
	v_add_co_u32_e32 v1, vcc, s0, v12
	v_addc_co_u32_e32 v4, vcc, 0, v0, vcc
	v_add_co_u32_e32 v0, vcc, 0x1000, v1
	v_addc_co_u32_e32 v1, vcc, 0, v4, vcc
	global_store_dwordx2 v[0:1], v[2:3], off offset:2048
	s_endpgm
.LBB13_54:
	global_load_dwordx2 v[2:3], v[4:5], off
	s_or_b64 exec, exec, s[8:9]
                                        ; implicit-def: $vgpr20_vgpr21
	s_and_saveexec_b64 s[8:9], s[0:1]
	s_cbranch_execz .LBB13_13
.LBB13_55:
	global_load_dwordx2 v[20:21], v[4:5], off offset:512
	s_or_b64 exec, exec, s[8:9]
                                        ; implicit-def: $vgpr22_vgpr23
	s_and_saveexec_b64 s[0:1], s[2:3]
	s_cbranch_execz .LBB13_14
.LBB13_56:
	global_load_dwordx2 v[22:23], v[4:5], off offset:1024
	s_or_b64 exec, exec, s[0:1]
                                        ; implicit-def: $vgpr24_vgpr25
	s_and_saveexec_b64 s[0:1], s[6:7]
	s_cbranch_execnz .LBB13_15
	s_branch .LBB13_16
.LBB13_57:
	s_waitcnt lgkmcnt(1)
	global_store_dwordx2 v[8:9], v[4:5], off
	s_or_b64 exec, exec, s[4:5]
	s_and_saveexec_b64 s[4:5], s[0:1]
	s_cbranch_execz .LBB13_48
.LBB13_58:
	s_waitcnt lgkmcnt(1)
	global_store_dwordx2 v[8:9], v[6:7], off offset:2048
	s_or_b64 exec, exec, s[4:5]
	s_and_saveexec_b64 s[0:1], s[2:3]
	s_cbranch_execnz .LBB13_49
	s_branch .LBB13_50
	.section	.rodata,"a",@progbits
	.p2align	6, 0x0
	.amdhsa_kernel _ZN7rocprim17ROCPRIM_304000_NS6detail28radix_sort_block_sort_kernelINS1_36wrapped_radix_sort_block_sort_configINS0_13kernel_configILj256ELj4ELj4294967295EEE12hip_bfloat16N2at4cuda3cub6detail10OpaqueTypeILi8EEEEELb0EPKS6_PS6_PKSC_PSC_NS0_19identity_decomposerEEEvT1_T2_T3_T4_jT5_jj
		.amdhsa_group_segment_fixed_size 8192
		.amdhsa_private_segment_fixed_size 0
		.amdhsa_kernarg_size 304
		.amdhsa_user_sgpr_count 6
		.amdhsa_user_sgpr_private_segment_buffer 1
		.amdhsa_user_sgpr_dispatch_ptr 0
		.amdhsa_user_sgpr_queue_ptr 0
		.amdhsa_user_sgpr_kernarg_segment_ptr 1
		.amdhsa_user_sgpr_dispatch_id 0
		.amdhsa_user_sgpr_flat_scratch_init 0
		.amdhsa_user_sgpr_kernarg_preload_length 0
		.amdhsa_user_sgpr_kernarg_preload_offset 0
		.amdhsa_user_sgpr_private_segment_size 0
		.amdhsa_uses_dynamic_stack 0
		.amdhsa_system_sgpr_private_segment_wavefront_offset 0
		.amdhsa_system_sgpr_workgroup_id_x 1
		.amdhsa_system_sgpr_workgroup_id_y 0
		.amdhsa_system_sgpr_workgroup_id_z 0
		.amdhsa_system_sgpr_workgroup_info 0
		.amdhsa_system_vgpr_workitem_id 2
		.amdhsa_next_free_vgpr 53
		.amdhsa_next_free_sgpr 48
		.amdhsa_accum_offset 56
		.amdhsa_reserve_vcc 1
		.amdhsa_reserve_flat_scratch 0
		.amdhsa_float_round_mode_32 0
		.amdhsa_float_round_mode_16_64 0
		.amdhsa_float_denorm_mode_32 3
		.amdhsa_float_denorm_mode_16_64 3
		.amdhsa_dx10_clamp 1
		.amdhsa_ieee_mode 1
		.amdhsa_fp16_overflow 0
		.amdhsa_tg_split 0
		.amdhsa_exception_fp_ieee_invalid_op 0
		.amdhsa_exception_fp_denorm_src 0
		.amdhsa_exception_fp_ieee_div_zero 0
		.amdhsa_exception_fp_ieee_overflow 0
		.amdhsa_exception_fp_ieee_underflow 0
		.amdhsa_exception_fp_ieee_inexact 0
		.amdhsa_exception_int_div_zero 0
	.end_amdhsa_kernel
	.section	.text._ZN7rocprim17ROCPRIM_304000_NS6detail28radix_sort_block_sort_kernelINS1_36wrapped_radix_sort_block_sort_configINS0_13kernel_configILj256ELj4ELj4294967295EEE12hip_bfloat16N2at4cuda3cub6detail10OpaqueTypeILi8EEEEELb0EPKS6_PS6_PKSC_PSC_NS0_19identity_decomposerEEEvT1_T2_T3_T4_jT5_jj,"axG",@progbits,_ZN7rocprim17ROCPRIM_304000_NS6detail28radix_sort_block_sort_kernelINS1_36wrapped_radix_sort_block_sort_configINS0_13kernel_configILj256ELj4ELj4294967295EEE12hip_bfloat16N2at4cuda3cub6detail10OpaqueTypeILi8EEEEELb0EPKS6_PS6_PKSC_PSC_NS0_19identity_decomposerEEEvT1_T2_T3_T4_jT5_jj,comdat
.Lfunc_end13:
	.size	_ZN7rocprim17ROCPRIM_304000_NS6detail28radix_sort_block_sort_kernelINS1_36wrapped_radix_sort_block_sort_configINS0_13kernel_configILj256ELj4ELj4294967295EEE12hip_bfloat16N2at4cuda3cub6detail10OpaqueTypeILi8EEEEELb0EPKS6_PS6_PKSC_PSC_NS0_19identity_decomposerEEEvT1_T2_T3_T4_jT5_jj, .Lfunc_end13-_ZN7rocprim17ROCPRIM_304000_NS6detail28radix_sort_block_sort_kernelINS1_36wrapped_radix_sort_block_sort_configINS0_13kernel_configILj256ELj4ELj4294967295EEE12hip_bfloat16N2at4cuda3cub6detail10OpaqueTypeILi8EEEEELb0EPKS6_PS6_PKSC_PSC_NS0_19identity_decomposerEEEvT1_T2_T3_T4_jT5_jj
                                        ; -- End function
	.section	.AMDGPU.csdata,"",@progbits
; Kernel info:
; codeLenInByte = 4044
; NumSgprs: 52
; NumVgprs: 53
; NumAgprs: 0
; TotalNumVgprs: 53
; ScratchSize: 0
; MemoryBound: 0
; FloatMode: 240
; IeeeMode: 1
; LDSByteSize: 8192 bytes/workgroup (compile time only)
; SGPRBlocks: 6
; VGPRBlocks: 6
; NumSGPRsForWavesPerEU: 52
; NumVGPRsForWavesPerEU: 53
; AccumOffset: 56
; Occupancy: 8
; WaveLimiterHint : 1
; COMPUTE_PGM_RSRC2:SCRATCH_EN: 0
; COMPUTE_PGM_RSRC2:USER_SGPR: 6
; COMPUTE_PGM_RSRC2:TRAP_HANDLER: 0
; COMPUTE_PGM_RSRC2:TGID_X_EN: 1
; COMPUTE_PGM_RSRC2:TGID_Y_EN: 0
; COMPUTE_PGM_RSRC2:TGID_Z_EN: 0
; COMPUTE_PGM_RSRC2:TIDIG_COMP_CNT: 2
; COMPUTE_PGM_RSRC3_GFX90A:ACCUM_OFFSET: 13
; COMPUTE_PGM_RSRC3_GFX90A:TG_SPLIT: 0
	.section	.text._ZN7rocprim17ROCPRIM_304000_NS6detail45device_block_merge_mergepath_partition_kernelINS1_37wrapped_merge_sort_block_merge_configINS0_14default_configE12hip_bfloat16N2at4cuda3cub6detail10OpaqueTypeILi8EEEEEPS5_jNS1_19radix_merge_compareILb0ELb0ES5_NS0_19identity_decomposerEEEEEvT0_T1_jPSI_T2_SI_,"axG",@progbits,_ZN7rocprim17ROCPRIM_304000_NS6detail45device_block_merge_mergepath_partition_kernelINS1_37wrapped_merge_sort_block_merge_configINS0_14default_configE12hip_bfloat16N2at4cuda3cub6detail10OpaqueTypeILi8EEEEEPS5_jNS1_19radix_merge_compareILb0ELb0ES5_NS0_19identity_decomposerEEEEEvT0_T1_jPSI_T2_SI_,comdat
	.protected	_ZN7rocprim17ROCPRIM_304000_NS6detail45device_block_merge_mergepath_partition_kernelINS1_37wrapped_merge_sort_block_merge_configINS0_14default_configE12hip_bfloat16N2at4cuda3cub6detail10OpaqueTypeILi8EEEEEPS5_jNS1_19radix_merge_compareILb0ELb0ES5_NS0_19identity_decomposerEEEEEvT0_T1_jPSI_T2_SI_ ; -- Begin function _ZN7rocprim17ROCPRIM_304000_NS6detail45device_block_merge_mergepath_partition_kernelINS1_37wrapped_merge_sort_block_merge_configINS0_14default_configE12hip_bfloat16N2at4cuda3cub6detail10OpaqueTypeILi8EEEEEPS5_jNS1_19radix_merge_compareILb0ELb0ES5_NS0_19identity_decomposerEEEEEvT0_T1_jPSI_T2_SI_
	.globl	_ZN7rocprim17ROCPRIM_304000_NS6detail45device_block_merge_mergepath_partition_kernelINS1_37wrapped_merge_sort_block_merge_configINS0_14default_configE12hip_bfloat16N2at4cuda3cub6detail10OpaqueTypeILi8EEEEEPS5_jNS1_19radix_merge_compareILb0ELb0ES5_NS0_19identity_decomposerEEEEEvT0_T1_jPSI_T2_SI_
	.p2align	8
	.type	_ZN7rocprim17ROCPRIM_304000_NS6detail45device_block_merge_mergepath_partition_kernelINS1_37wrapped_merge_sort_block_merge_configINS0_14default_configE12hip_bfloat16N2at4cuda3cub6detail10OpaqueTypeILi8EEEEEPS5_jNS1_19radix_merge_compareILb0ELb0ES5_NS0_19identity_decomposerEEEEEvT0_T1_jPSI_T2_SI_,@function
_ZN7rocprim17ROCPRIM_304000_NS6detail45device_block_merge_mergepath_partition_kernelINS1_37wrapped_merge_sort_block_merge_configINS0_14default_configE12hip_bfloat16N2at4cuda3cub6detail10OpaqueTypeILi8EEEEEPS5_jNS1_19radix_merge_compareILb0ELb0ES5_NS0_19identity_decomposerEEEEEvT0_T1_jPSI_T2_SI_: ; @_ZN7rocprim17ROCPRIM_304000_NS6detail45device_block_merge_mergepath_partition_kernelINS1_37wrapped_merge_sort_block_merge_configINS0_14default_configE12hip_bfloat16N2at4cuda3cub6detail10OpaqueTypeILi8EEEEEPS5_jNS1_19radix_merge_compareILb0ELb0ES5_NS0_19identity_decomposerEEEEEvT0_T1_jPSI_T2_SI_
; %bb.0:
	s_load_dwordx2 s[0:1], s[4:5], 0x8
	v_lshl_or_b32 v0, s6, 7, v0
	s_waitcnt lgkmcnt(0)
	v_cmp_gt_u32_e32 vcc, s1, v0
	s_and_saveexec_b64 s[2:3], vcc
	s_cbranch_execz .LBB14_6
; %bb.1:
	s_load_dword s1, s[4:5], 0x1c
	s_waitcnt lgkmcnt(0)
	s_lshr_b32 s2, s1, 9
	s_and_b32 s2, s2, 0x7ffffe
	s_add_i32 s3, s2, -1
	s_sub_i32 s2, 0, s2
	v_and_b32_e32 v1, s2, v0
	v_and_b32_e32 v2, s3, v0
	v_lshlrev_b32_e32 v1, 10, v1
	v_lshlrev_b32_e32 v3, 10, v2
	v_min_u32_e32 v2, s0, v1
	v_add_u32_e32 v1, s1, v1
	v_min_u32_e32 v4, s0, v1
	v_add_u32_e32 v1, s1, v4
	v_min_u32_e32 v1, s0, v1
	v_sub_u32_e32 v5, v1, v2
	v_min_u32_e32 v6, v5, v3
	v_sub_u32_e32 v3, v4, v2
	v_sub_u32_e32 v1, v1, v4
	v_sub_u32_e64 v1, v6, v1 clamp
	v_min_u32_e32 v7, v6, v3
	v_cmp_lt_u32_e32 vcc, v1, v7
	s_and_saveexec_b64 s[0:1], vcc
	s_cbranch_execz .LBB14_5
; %bb.2:
	s_load_dwordx2 s[2:3], s[4:5], 0x0
	v_mov_b32_e32 v5, 0
	v_mov_b32_e32 v3, v5
	v_lshlrev_b64 v[8:9], 1, v[2:3]
	v_lshlrev_b64 v[10:11], 1, v[4:5]
	s_waitcnt lgkmcnt(0)
	v_mov_b32_e32 v12, s3
	v_add_co_u32_e32 v3, vcc, s2, v8
	v_addc_co_u32_e32 v8, vcc, v12, v9, vcc
	v_add_co_u32_e32 v9, vcc, s2, v10
	v_addc_co_u32_e32 v10, vcc, v12, v11, vcc
	s_mov_b64 s[2:3], 0
	s_movk_i32 s6, 0x8000
	v_mov_b32_e32 v11, 0xffff8000
.LBB14_3:                               ; =>This Inner Loop Header: Depth=1
	v_add_u32_e32 v4, v7, v1
	v_and_b32_e32 v12, -2, v4
	v_lshrrev_b32_e32 v14, 1, v4
	v_add_co_u32_e32 v12, vcc, v3, v12
	v_xad_u32 v4, v14, -1, v6
	v_addc_co_u32_e32 v13, vcc, 0, v8, vcc
	global_load_ushort v15, v[12:13], off
	v_lshlrev_b64 v[12:13], 1, v[4:5]
	v_add_co_u32_e32 v12, vcc, v9, v12
	v_addc_co_u32_e32 v13, vcc, v10, v13, vcc
	global_load_ushort v4, v[12:13], off
	v_add_u32_e32 v12, 1, v14
	s_waitcnt vmcnt(1)
	v_cmp_ne_u16_e32 vcc, s6, v15
	v_cndmask_b32_e32 v13, 0, v15, vcc
	v_cmp_lt_i16_e32 vcc, -1, v13
	v_cndmask_b32_e32 v15, -1, v11, vcc
	v_xor_b32_e32 v13, v15, v13
	s_waitcnt vmcnt(0)
	v_cmp_ne_u16_e32 vcc, s6, v4
	v_cndmask_b32_e32 v4, 0, v4, vcc
	v_cmp_lt_i16_e32 vcc, -1, v4
	v_cndmask_b32_e32 v15, -1, v11, vcc
	v_xor_b32_e32 v4, v15, v4
	v_cmp_gt_u16_e32 vcc, v13, v4
	v_cndmask_b32_e32 v7, v7, v14, vcc
	v_cndmask_b32_e32 v1, v12, v1, vcc
	v_cmp_ge_u32_e32 vcc, v1, v7
	s_or_b64 s[2:3], vcc, s[2:3]
	s_andn2_b64 exec, exec, s[2:3]
	s_cbranch_execnz .LBB14_3
; %bb.4:
	s_or_b64 exec, exec, s[2:3]
.LBB14_5:
	s_or_b64 exec, exec, s[0:1]
	s_load_dwordx2 s[0:1], s[4:5], 0x10
	v_add_u32_e32 v2, v1, v2
	v_mov_b32_e32 v1, 0
	v_lshlrev_b64 v[0:1], 2, v[0:1]
	s_waitcnt lgkmcnt(0)
	v_mov_b32_e32 v3, s1
	v_add_co_u32_e32 v0, vcc, s0, v0
	v_addc_co_u32_e32 v1, vcc, v3, v1, vcc
	global_store_dword v[0:1], v2, off
.LBB14_6:
	s_endpgm
	.section	.rodata,"a",@progbits
	.p2align	6, 0x0
	.amdhsa_kernel _ZN7rocprim17ROCPRIM_304000_NS6detail45device_block_merge_mergepath_partition_kernelINS1_37wrapped_merge_sort_block_merge_configINS0_14default_configE12hip_bfloat16N2at4cuda3cub6detail10OpaqueTypeILi8EEEEEPS5_jNS1_19radix_merge_compareILb0ELb0ES5_NS0_19identity_decomposerEEEEEvT0_T1_jPSI_T2_SI_
		.amdhsa_group_segment_fixed_size 0
		.amdhsa_private_segment_fixed_size 0
		.amdhsa_kernarg_size 32
		.amdhsa_user_sgpr_count 6
		.amdhsa_user_sgpr_private_segment_buffer 1
		.amdhsa_user_sgpr_dispatch_ptr 0
		.amdhsa_user_sgpr_queue_ptr 0
		.amdhsa_user_sgpr_kernarg_segment_ptr 1
		.amdhsa_user_sgpr_dispatch_id 0
		.amdhsa_user_sgpr_flat_scratch_init 0
		.amdhsa_user_sgpr_kernarg_preload_length 0
		.amdhsa_user_sgpr_kernarg_preload_offset 0
		.amdhsa_user_sgpr_private_segment_size 0
		.amdhsa_uses_dynamic_stack 0
		.amdhsa_system_sgpr_private_segment_wavefront_offset 0
		.amdhsa_system_sgpr_workgroup_id_x 1
		.amdhsa_system_sgpr_workgroup_id_y 0
		.amdhsa_system_sgpr_workgroup_id_z 0
		.amdhsa_system_sgpr_workgroup_info 0
		.amdhsa_system_vgpr_workitem_id 0
		.amdhsa_next_free_vgpr 16
		.amdhsa_next_free_sgpr 7
		.amdhsa_accum_offset 16
		.amdhsa_reserve_vcc 1
		.amdhsa_reserve_flat_scratch 0
		.amdhsa_float_round_mode_32 0
		.amdhsa_float_round_mode_16_64 0
		.amdhsa_float_denorm_mode_32 3
		.amdhsa_float_denorm_mode_16_64 3
		.amdhsa_dx10_clamp 1
		.amdhsa_ieee_mode 1
		.amdhsa_fp16_overflow 0
		.amdhsa_tg_split 0
		.amdhsa_exception_fp_ieee_invalid_op 0
		.amdhsa_exception_fp_denorm_src 0
		.amdhsa_exception_fp_ieee_div_zero 0
		.amdhsa_exception_fp_ieee_overflow 0
		.amdhsa_exception_fp_ieee_underflow 0
		.amdhsa_exception_fp_ieee_inexact 0
		.amdhsa_exception_int_div_zero 0
	.end_amdhsa_kernel
	.section	.text._ZN7rocprim17ROCPRIM_304000_NS6detail45device_block_merge_mergepath_partition_kernelINS1_37wrapped_merge_sort_block_merge_configINS0_14default_configE12hip_bfloat16N2at4cuda3cub6detail10OpaqueTypeILi8EEEEEPS5_jNS1_19radix_merge_compareILb0ELb0ES5_NS0_19identity_decomposerEEEEEvT0_T1_jPSI_T2_SI_,"axG",@progbits,_ZN7rocprim17ROCPRIM_304000_NS6detail45device_block_merge_mergepath_partition_kernelINS1_37wrapped_merge_sort_block_merge_configINS0_14default_configE12hip_bfloat16N2at4cuda3cub6detail10OpaqueTypeILi8EEEEEPS5_jNS1_19radix_merge_compareILb0ELb0ES5_NS0_19identity_decomposerEEEEEvT0_T1_jPSI_T2_SI_,comdat
.Lfunc_end14:
	.size	_ZN7rocprim17ROCPRIM_304000_NS6detail45device_block_merge_mergepath_partition_kernelINS1_37wrapped_merge_sort_block_merge_configINS0_14default_configE12hip_bfloat16N2at4cuda3cub6detail10OpaqueTypeILi8EEEEEPS5_jNS1_19radix_merge_compareILb0ELb0ES5_NS0_19identity_decomposerEEEEEvT0_T1_jPSI_T2_SI_, .Lfunc_end14-_ZN7rocprim17ROCPRIM_304000_NS6detail45device_block_merge_mergepath_partition_kernelINS1_37wrapped_merge_sort_block_merge_configINS0_14default_configE12hip_bfloat16N2at4cuda3cub6detail10OpaqueTypeILi8EEEEEPS5_jNS1_19radix_merge_compareILb0ELb0ES5_NS0_19identity_decomposerEEEEEvT0_T1_jPSI_T2_SI_
                                        ; -- End function
	.section	.AMDGPU.csdata,"",@progbits
; Kernel info:
; codeLenInByte = 412
; NumSgprs: 11
; NumVgprs: 16
; NumAgprs: 0
; TotalNumVgprs: 16
; ScratchSize: 0
; MemoryBound: 0
; FloatMode: 240
; IeeeMode: 1
; LDSByteSize: 0 bytes/workgroup (compile time only)
; SGPRBlocks: 1
; VGPRBlocks: 1
; NumSGPRsForWavesPerEU: 11
; NumVGPRsForWavesPerEU: 16
; AccumOffset: 16
; Occupancy: 8
; WaveLimiterHint : 0
; COMPUTE_PGM_RSRC2:SCRATCH_EN: 0
; COMPUTE_PGM_RSRC2:USER_SGPR: 6
; COMPUTE_PGM_RSRC2:TRAP_HANDLER: 0
; COMPUTE_PGM_RSRC2:TGID_X_EN: 1
; COMPUTE_PGM_RSRC2:TGID_Y_EN: 0
; COMPUTE_PGM_RSRC2:TGID_Z_EN: 0
; COMPUTE_PGM_RSRC2:TIDIG_COMP_CNT: 0
; COMPUTE_PGM_RSRC3_GFX90A:ACCUM_OFFSET: 3
; COMPUTE_PGM_RSRC3_GFX90A:TG_SPLIT: 0
	.section	.text._ZN7rocprim17ROCPRIM_304000_NS6detail35device_block_merge_mergepath_kernelINS1_37wrapped_merge_sort_block_merge_configINS0_14default_configE12hip_bfloat16N2at4cuda3cub6detail10OpaqueTypeILi8EEEEEPS5_SD_PSB_SE_jNS1_19radix_merge_compareILb0ELb0ES5_NS0_19identity_decomposerEEEEEvT0_T1_T2_T3_T4_SM_jT5_PKSM_NS1_7vsmem_tE,"axG",@progbits,_ZN7rocprim17ROCPRIM_304000_NS6detail35device_block_merge_mergepath_kernelINS1_37wrapped_merge_sort_block_merge_configINS0_14default_configE12hip_bfloat16N2at4cuda3cub6detail10OpaqueTypeILi8EEEEEPS5_SD_PSB_SE_jNS1_19radix_merge_compareILb0ELb0ES5_NS0_19identity_decomposerEEEEEvT0_T1_T2_T3_T4_SM_jT5_PKSM_NS1_7vsmem_tE,comdat
	.protected	_ZN7rocprim17ROCPRIM_304000_NS6detail35device_block_merge_mergepath_kernelINS1_37wrapped_merge_sort_block_merge_configINS0_14default_configE12hip_bfloat16N2at4cuda3cub6detail10OpaqueTypeILi8EEEEEPS5_SD_PSB_SE_jNS1_19radix_merge_compareILb0ELb0ES5_NS0_19identity_decomposerEEEEEvT0_T1_T2_T3_T4_SM_jT5_PKSM_NS1_7vsmem_tE ; -- Begin function _ZN7rocprim17ROCPRIM_304000_NS6detail35device_block_merge_mergepath_kernelINS1_37wrapped_merge_sort_block_merge_configINS0_14default_configE12hip_bfloat16N2at4cuda3cub6detail10OpaqueTypeILi8EEEEEPS5_SD_PSB_SE_jNS1_19radix_merge_compareILb0ELb0ES5_NS0_19identity_decomposerEEEEEvT0_T1_T2_T3_T4_SM_jT5_PKSM_NS1_7vsmem_tE
	.globl	_ZN7rocprim17ROCPRIM_304000_NS6detail35device_block_merge_mergepath_kernelINS1_37wrapped_merge_sort_block_merge_configINS0_14default_configE12hip_bfloat16N2at4cuda3cub6detail10OpaqueTypeILi8EEEEEPS5_SD_PSB_SE_jNS1_19radix_merge_compareILb0ELb0ES5_NS0_19identity_decomposerEEEEEvT0_T1_T2_T3_T4_SM_jT5_PKSM_NS1_7vsmem_tE
	.p2align	8
	.type	_ZN7rocprim17ROCPRIM_304000_NS6detail35device_block_merge_mergepath_kernelINS1_37wrapped_merge_sort_block_merge_configINS0_14default_configE12hip_bfloat16N2at4cuda3cub6detail10OpaqueTypeILi8EEEEEPS5_SD_PSB_SE_jNS1_19radix_merge_compareILb0ELb0ES5_NS0_19identity_decomposerEEEEEvT0_T1_T2_T3_T4_SM_jT5_PKSM_NS1_7vsmem_tE,@function
_ZN7rocprim17ROCPRIM_304000_NS6detail35device_block_merge_mergepath_kernelINS1_37wrapped_merge_sort_block_merge_configINS0_14default_configE12hip_bfloat16N2at4cuda3cub6detail10OpaqueTypeILi8EEEEEPS5_SD_PSB_SE_jNS1_19radix_merge_compareILb0ELb0ES5_NS0_19identity_decomposerEEEEEvT0_T1_T2_T3_T4_SM_jT5_PKSM_NS1_7vsmem_tE: ; @_ZN7rocprim17ROCPRIM_304000_NS6detail35device_block_merge_mergepath_kernelINS1_37wrapped_merge_sort_block_merge_configINS0_14default_configE12hip_bfloat16N2at4cuda3cub6detail10OpaqueTypeILi8EEEEEPS5_SD_PSB_SE_jNS1_19radix_merge_compareILb0ELb0ES5_NS0_19identity_decomposerEEEEEvT0_T1_T2_T3_T4_SM_jT5_PKSM_NS1_7vsmem_tE
; %bb.0:
	s_load_dwordx2 s[26:27], s[4:5], 0x40
	s_load_dwordx4 s[16:19], s[4:5], 0x20
	s_add_u32 s2, s4, 64
	s_addc_u32 s3, s5, 0
	s_waitcnt lgkmcnt(0)
	s_mul_i32 s0, s27, s8
	s_add_i32 s0, s0, s7
	s_mul_i32 s0, s0, s26
	s_add_i32 s0, s0, s6
	s_cmp_ge_u32 s0, s18
	s_cbranch_scc1 .LBB15_91
; %bb.1:
	s_load_dwordx8 s[8:15], s[4:5], 0x0
	s_load_dwordx2 s[18:19], s[4:5], 0x30
	s_lshr_b32 s29, s16, 10
	s_cmp_lg_u32 s0, s29
	s_mov_b32 s1, 0
	s_cselect_b64 s[20:21], -1, 0
	s_lshl_b64 s[4:5], s[0:1], 2
	s_waitcnt lgkmcnt(0)
	s_add_u32 s4, s18, s4
	s_addc_u32 s5, s19, s5
	s_load_dwordx2 s[22:23], s[4:5], 0x0
	s_lshr_b32 s4, s17, 9
	s_and_b32 s4, s4, 0x7ffffe
	s_sub_i32 s4, 0, s4
	s_and_b32 s5, s0, s4
	s_lshl_b32 s7, s5, 10
	s_lshl_b32 s18, s0, 10
	;; [unrolled: 1-line block ×3, first 2 shown]
	s_sub_i32 s19, s18, s7
	s_add_i32 s5, s5, s17
	s_add_i32 s19, s5, s19
	s_waitcnt lgkmcnt(0)
	s_sub_i32 s24, s19, s22
	s_sub_i32 s19, s19, s23
	;; [unrolled: 1-line block ×3, first 2 shown]
	s_min_u32 s24, s16, s24
	s_addk_i32 s19, 0x400
	s_or_b32 s4, s0, s4
	s_min_u32 s7, s16, s5
	s_add_i32 s5, s5, s17
	s_cmp_eq_u32 s4, -1
	s_cselect_b32 s4, s5, s19
	s_cselect_b32 s5, s7, s23
	s_min_u32 s4, s4, s16
	s_mov_b32 s23, s1
	s_sub_i32 s17, s5, s22
	s_sub_i32 s19, s4, s24
	s_lshl_b64 s[4:5], s[22:23], 1
	s_add_u32 s27, s8, s4
	s_mov_b32 s25, s1
	s_addc_u32 s28, s9, s5
	s_lshl_b64 s[4:5], s[24:25], 1
	s_add_u32 s7, s8, s4
	s_addc_u32 s8, s9, s5
	s_cmp_lt_u32 s6, s26
	v_mov_b32_e32 v7, 0
	s_cselect_b32 s1, 12, 18
	global_load_dword v1, v7, s[2:3] offset:14
	s_add_u32 s2, s2, s1
	s_addc_u32 s3, s3, 0
	global_load_ushort v2, v7, s[2:3]
	v_cmp_gt_u32_e32 vcc, s17, v0
	s_cmp_eq_u32 s0, s29
	s_waitcnt vmcnt(1)
	v_lshrrev_b32_e32 v3, 16, v1
	v_and_b32_e32 v1, 0xffff, v1
	v_mul_lo_u32 v1, v1, v3
	s_waitcnt vmcnt(0)
	v_mul_lo_u32 v10, v1, v2
	v_add_u32_e32 v4, v10, v0
	v_lshlrev_b32_e32 v1, 1, v0
	v_add_u32_e32 v2, v4, v10
	s_cbranch_scc1 .LBB15_3
; %bb.2:
	v_mov_b32_e32 v3, s28
	v_add_co_u32_e64 v5, s[0:1], s27, v1
	v_subrev_u32_e32 v6, s17, v0
	v_addc_co_u32_e64 v3, s[0:1], 0, v3, s[0:1]
	v_lshlrev_b64 v[8:9], 1, v[6:7]
	v_add_co_u32_e64 v8, s[0:1], s7, v8
	v_mov_b32_e32 v6, s8
	v_cndmask_b32_e32 v8, v8, v5, vcc
	v_mov_b32_e32 v5, v7
	v_addc_co_u32_e64 v6, s[0:1], v6, v9, s[0:1]
	v_lshlrev_b64 v[12:13], 1, v[4:5]
	v_cndmask_b32_e32 v9, v6, v3, vcc
	v_mov_b32_e32 v3, s28
	v_add_co_u32_e32 v5, vcc, s27, v12
	v_subrev_u32_e32 v6, s17, v4
	v_addc_co_u32_e32 v3, vcc, v3, v13, vcc
	v_lshlrev_b64 v[12:13], 1, v[6:7]
	global_load_ushort v8, v[8:9], off
	v_mov_b32_e32 v6, s8
	v_add_co_u32_e32 v9, vcc, s7, v12
	v_addc_co_u32_e32 v6, vcc, v6, v13, vcc
	v_cmp_gt_u32_e32 vcc, s17, v4
	v_cndmask_b32_e32 v13, v6, v3, vcc
	v_cndmask_b32_e32 v12, v9, v5, vcc
	v_mov_b32_e32 v3, v7
	global_load_ushort v9, v[12:13], off
	v_lshlrev_b64 v[12:13], 1, v[2:3]
	v_mov_b32_e32 v3, s28
	v_add_co_u32_e32 v5, vcc, s27, v12
	v_subrev_u32_e32 v6, s17, v2
	v_addc_co_u32_e32 v3, vcc, v3, v13, vcc
	v_lshlrev_b64 v[12:13], 1, v[6:7]
	v_mov_b32_e32 v6, s8
	v_add_co_u32_e32 v11, vcc, s7, v12
	v_addc_co_u32_e32 v6, vcc, v6, v13, vcc
	v_cmp_gt_u32_e32 vcc, s17, v2
	v_cndmask_b32_e32 v13, v6, v3, vcc
	v_cndmask_b32_e32 v12, v11, v5, vcc
	global_load_ushort v11, v[12:13], off
	v_add_u32_e32 v6, v2, v10
	v_lshlrev_b64 v[12:13], 1, v[6:7]
	v_mov_b32_e32 v3, s28
	v_add_co_u32_e32 v5, vcc, s27, v12
	v_addc_co_u32_e32 v3, vcc, v3, v13, vcc
	v_cmp_gt_u32_e32 vcc, s17, v6
	v_subrev_u32_e32 v6, s17, v6
	v_lshlrev_b64 v[6:7], 1, v[6:7]
	v_mov_b32_e32 v12, s8
	v_add_co_u32_e64 v6, s[0:1], s7, v6
	v_addc_co_u32_e64 v7, s[0:1], v12, v7, s[0:1]
	v_cndmask_b32_e32 v7, v7, v3, vcc
	v_cndmask_b32_e32 v6, v6, v5, vcc
	s_add_i32 s6, s19, s17
	s_mov_b64 s[2:3], -1
	s_cbranch_execz .LBB15_4
	s_branch .LBB15_13
.LBB15_3:
	s_mov_b64 s[2:3], 0
                                        ; implicit-def: $vgpr6_vgpr7
                                        ; implicit-def: $vgpr11
                                        ; implicit-def: $vgpr9
                                        ; implicit-def: $vgpr8
                                        ; implicit-def: $sgpr6
.LBB15_4:
	s_add_i32 s6, s19, s17
	v_cmp_gt_u32_e32 vcc, s6, v0
                                        ; implicit-def: $vgpr8
	s_and_saveexec_b64 s[0:1], vcc
	s_cbranch_execz .LBB15_6
; %bb.5:
	v_mov_b32_e32 v7, 0
	v_mov_b32_e32 v3, s28
	v_add_co_u32_e32 v5, vcc, s27, v1
	v_subrev_u32_e32 v6, s17, v0
	v_addc_co_u32_e32 v3, vcc, 0, v3, vcc
	v_lshlrev_b64 v[6:7], 1, v[6:7]
	s_waitcnt vmcnt(2)
	v_mov_b32_e32 v8, s8
	v_add_co_u32_e32 v6, vcc, s7, v6
	v_addc_co_u32_e32 v7, vcc, v8, v7, vcc
	v_cmp_gt_u32_e32 vcc, s17, v0
	v_cndmask_b32_e32 v7, v7, v3, vcc
	v_cndmask_b32_e32 v6, v6, v5, vcc
	global_load_ushort v8, v[6:7], off
.LBB15_6:
	s_or_b64 exec, exec, s[0:1]
	v_cmp_gt_u32_e32 vcc, s6, v4
                                        ; implicit-def: $vgpr9
	s_and_saveexec_b64 s[4:5], vcc
	s_cbranch_execz .LBB15_8
; %bb.7:
	v_mov_b32_e32 v5, 0
	v_lshlrev_b64 v[6:7], 1, v[4:5]
	v_mov_b32_e32 v3, s28
	v_add_co_u32_e32 v6, vcc, s27, v6
	v_addc_co_u32_e32 v3, vcc, v3, v7, vcc
	v_cmp_gt_u32_e32 vcc, s17, v4
	v_subrev_u32_e32 v4, s17, v4
	v_lshlrev_b64 v[4:5], 1, v[4:5]
	v_mov_b32_e32 v7, s8
	v_add_co_u32_e64 v4, s[0:1], s7, v4
	v_addc_co_u32_e64 v5, s[0:1], v7, v5, s[0:1]
	v_cndmask_b32_e32 v5, v5, v3, vcc
	v_cndmask_b32_e32 v4, v4, v6, vcc
	global_load_ushort v9, v[4:5], off
.LBB15_8:
	s_or_b64 exec, exec, s[4:5]
	v_cmp_gt_u32_e32 vcc, s6, v2
                                        ; implicit-def: $vgpr11
	s_and_saveexec_b64 s[0:1], vcc
	s_cbranch_execz .LBB15_10
; %bb.9:
	v_mov_b32_e32 v3, 0
	v_lshlrev_b64 v[4:5], 1, v[2:3]
	v_mov_b32_e32 v6, s28
	v_add_co_u32_e32 v7, vcc, s27, v4
	v_addc_co_u32_e32 v6, vcc, v6, v5, vcc
	v_subrev_u32_e32 v4, s17, v2
	v_mov_b32_e32 v5, v3
	v_lshlrev_b64 v[4:5], 1, v[4:5]
	v_mov_b32_e32 v3, s8
	v_add_co_u32_e32 v4, vcc, s7, v4
	v_addc_co_u32_e32 v3, vcc, v3, v5, vcc
	v_cmp_gt_u32_e32 vcc, s17, v2
	v_cndmask_b32_e32 v5, v3, v6, vcc
	v_cndmask_b32_e32 v4, v4, v7, vcc
	global_load_ushort v11, v[4:5], off
.LBB15_10:
	s_or_b64 exec, exec, s[0:1]
	v_add_u32_e32 v2, v2, v10
	v_cmp_gt_u32_e32 vcc, s6, v2
                                        ; implicit-def: $vgpr6_vgpr7
	s_and_saveexec_b64 s[4:5], vcc
	s_cbranch_execz .LBB15_12
; %bb.11:
	v_mov_b32_e32 v3, 0
	v_lshlrev_b64 v[4:5], 1, v[2:3]
	v_mov_b32_e32 v6, s28
	v_add_co_u32_e32 v4, vcc, s27, v4
	v_addc_co_u32_e32 v5, vcc, v6, v5, vcc
	v_cmp_gt_u32_e32 vcc, s17, v2
	v_subrev_u32_e32 v2, s17, v2
	v_lshlrev_b64 v[2:3], 1, v[2:3]
	v_mov_b32_e32 v6, s8
	v_add_co_u32_e64 v2, s[0:1], s7, v2
	v_addc_co_u32_e64 v3, s[0:1], v6, v3, s[0:1]
	v_cndmask_b32_e32 v7, v3, v5, vcc
	v_cndmask_b32_e32 v6, v2, v4, vcc
	s_or_b64 s[2:3], s[2:3], exec
.LBB15_12:
	s_or_b64 exec, exec, s[4:5]
.LBB15_13:
	v_mov_b32_e32 v10, s6
                                        ; implicit-def: $vgpr12
	s_and_saveexec_b64 s[0:1], s[2:3]
	s_cbranch_execz .LBB15_15
; %bb.14:
	global_load_ushort v12, v[6:7], off
	v_mov_b32_e32 v10, s6
.LBB15_15:
	s_or_b64 exec, exec, s[0:1]
	v_lshlrev_b32_e32 v6, 2, v0
	v_min_u32_e32 v2, v10, v6
	v_sub_u32_e64 v4, v2, s19 clamp
	v_min_u32_e32 v3, s17, v2
	v_cmp_lt_u32_e32 vcc, v4, v3
	s_waitcnt vmcnt(0)
	ds_write_b16 v1, v8
	ds_write_b16 v1, v9 offset:512
	ds_write_b16 v1, v11 offset:1024
	;; [unrolled: 1-line block ×3, first 2 shown]
	s_waitcnt lgkmcnt(0)
	s_barrier
	s_and_saveexec_b64 s[0:1], vcc
	s_cbranch_execz .LBB15_19
; %bb.16:
	v_lshlrev_b32_e32 v5, 1, v2
	v_lshl_add_u32 v5, s17, 1, v5
	s_mov_b64 s[2:3], 0
	s_movk_i32 s4, 0x8000
	v_mov_b32_e32 v7, 0xffff8000
.LBB15_17:                              ; =>This Inner Loop Header: Depth=1
	v_add_u32_e32 v13, v3, v4
	v_lshrrev_b32_e32 v14, 1, v13
	v_and_b32_e32 v13, -2, v13
	ds_read_u16 v13, v13
	v_not_b32_e32 v15, v14
	v_lshl_add_u32 v15, v15, 1, v5
	ds_read_u16 v15, v15
	v_add_u32_e32 v16, 1, v14
	s_waitcnt lgkmcnt(1)
	v_cmp_ne_u16_e32 vcc, s4, v13
	v_cndmask_b32_e32 v13, 0, v13, vcc
	v_cmp_lt_i16_e32 vcc, -1, v13
	v_cndmask_b32_e32 v17, -1, v7, vcc
	s_waitcnt lgkmcnt(0)
	v_cmp_ne_u16_e32 vcc, s4, v15
	v_cndmask_b32_e32 v15, 0, v15, vcc
	v_cmp_lt_i16_e32 vcc, -1, v15
	v_xor_b32_e32 v13, v17, v13
	v_cndmask_b32_e32 v17, -1, v7, vcc
	v_xor_b32_e32 v15, v17, v15
	v_cmp_gt_u16_e32 vcc, v13, v15
	v_cndmask_b32_e32 v3, v3, v14, vcc
	v_cndmask_b32_e32 v4, v16, v4, vcc
	v_cmp_ge_u32_e32 vcc, v4, v3
	s_or_b64 s[2:3], vcc, s[2:3]
	s_andn2_b64 exec, exec, s[2:3]
	s_cbranch_execnz .LBB15_17
; %bb.18:
	s_or_b64 exec, exec, s[2:3]
.LBB15_19:
	s_or_b64 exec, exec, s[0:1]
	v_sub_u32_e32 v2, v2, v4
	v_add_u32_e32 v5, s17, v2
	v_cmp_ge_u32_e32 vcc, s17, v4
	v_cmp_le_u32_e64 s[0:1], v5, v10
	s_or_b64 s[0:1], vcc, s[0:1]
                                        ; implicit-def: $vgpr14
                                        ; implicit-def: $vgpr15
                                        ; implicit-def: $vgpr13
                                        ; implicit-def: $vgpr7
	s_and_saveexec_b64 s[2:3], s[0:1]
	s_cbranch_execz .LBB15_39
; %bb.20:
	v_cmp_le_u32_e32 vcc, s17, v4
	v_cmp_gt_u32_e64 s[0:1], s17, v4
                                        ; implicit-def: $vgpr2
	s_and_saveexec_b64 s[4:5], s[0:1]
	s_cbranch_execz .LBB15_22
; %bb.21:
	v_lshlrev_b32_e32 v2, 1, v4
	ds_read_u16 v2, v2
.LBB15_22:
	s_or_b64 exec, exec, s[4:5]
	v_cmp_ge_u32_e64 s[4:5], v5, v10
	v_cmp_lt_u32_e64 s[0:1], v5, v10
                                        ; implicit-def: $vgpr3
	s_and_saveexec_b64 s[6:7], s[0:1]
	s_cbranch_execz .LBB15_24
; %bb.23:
	v_lshlrev_b32_e32 v3, 1, v5
	ds_read_u16 v3, v3
.LBB15_24:
	s_or_b64 exec, exec, s[6:7]
	s_or_b64 s[6:7], vcc, s[4:5]
	s_mov_b64 s[0:1], -1
	s_xor_b64 s[8:9], s[6:7], -1
	s_and_saveexec_b64 s[6:7], s[8:9]
	s_cbranch_execz .LBB15_26
; %bb.25:
	s_movk_i32 s8, 0x8000
	s_waitcnt lgkmcnt(0)
	v_cmp_ne_u16_e32 vcc, s8, v2
	v_cndmask_b32_e32 v7, 0, v2, vcc
	v_cmp_ne_u16_e32 vcc, s8, v3
	v_cndmask_b32_e32 v8, 0, v3, vcc
	v_mov_b32_e32 v9, 0xffff8000
	v_cmp_lt_i16_e32 vcc, -1, v7
	v_cndmask_b32_e32 v11, -1, v9, vcc
	v_cmp_lt_i16_e32 vcc, -1, v8
	v_cndmask_b32_e32 v9, -1, v9, vcc
	v_xor_b32_e32 v7, v11, v7
	v_xor_b32_e32 v8, v9, v8
	v_cmp_le_u16_e32 vcc, v7, v8
	s_andn2_b64 s[4:5], s[4:5], exec
	s_and_b64 s[8:9], vcc, exec
	s_or_b64 s[4:5], s[4:5], s[8:9]
.LBB15_26:
	s_or_b64 exec, exec, s[6:7]
	v_mov_b32_e32 v8, s17
	v_cndmask_b32_e64 v7, v5, v4, s[4:5]
	v_cndmask_b32_e64 v8, v10, v8, s[4:5]
	v_add_u32_e32 v11, 1, v7
	v_add_u32_e32 v8, -1, v8
	v_min_u32_e32 v8, v11, v8
	v_lshlrev_b32_e32 v8, 1, v8
	ds_read_u16 v8, v8
	v_cndmask_b32_e64 v9, v11, v5, s[4:5]
	v_cndmask_b32_e64 v12, v4, v11, s[4:5]
	v_cmp_lt_u32_e32 vcc, v9, v10
	s_waitcnt lgkmcnt(0)
	v_cndmask_b32_e64 v5, v8, v3, s[4:5]
	v_cndmask_b32_e64 v8, v2, v8, s[4:5]
	s_and_saveexec_b64 s[6:7], vcc
	s_cbranch_execz .LBB15_30
; %bb.27:
	v_cmp_gt_u32_e32 vcc, s17, v12
	s_mov_b64 s[8:9], 0
	s_and_saveexec_b64 s[0:1], vcc
	s_cbranch_execz .LBB15_29
; %bb.28:
	s_movk_i32 s8, 0x8000
	v_cmp_ne_u16_e32 vcc, s8, v8
	v_cndmask_b32_e32 v4, 0, v8, vcc
	v_cmp_ne_u16_e32 vcc, s8, v5
	v_cndmask_b32_e32 v11, 0, v5, vcc
	v_mov_b32_e32 v13, 0xffff8000
	v_cmp_lt_i16_e32 vcc, -1, v4
	v_cndmask_b32_e32 v14, -1, v13, vcc
	v_cmp_lt_i16_e32 vcc, -1, v11
	v_cndmask_b32_e32 v13, -1, v13, vcc
	v_xor_b32_e32 v4, v14, v4
	v_xor_b32_e32 v11, v13, v11
	v_cmp_le_u16_e32 vcc, v4, v11
	s_and_b64 s[8:9], vcc, exec
.LBB15_29:
	s_or_b64 exec, exec, s[0:1]
	s_orn2_b64 s[0:1], s[8:9], exec
.LBB15_30:
	s_or_b64 exec, exec, s[6:7]
	v_mov_b32_e32 v4, s17
	v_cndmask_b32_e64 v13, v9, v12, s[0:1]
	v_cndmask_b32_e64 v4, v10, v4, s[0:1]
	v_add_u32_e32 v14, 1, v13
	v_add_u32_e32 v4, -1, v4
	v_min_u32_e32 v4, v14, v4
	v_lshlrev_b32_e32 v4, 1, v4
	ds_read_u16 v15, v4
	v_cndmask_b32_e64 v11, v14, v9, s[0:1]
	v_cndmask_b32_e64 v12, v12, v14, s[0:1]
	v_cmp_lt_u32_e32 vcc, v11, v10
	s_mov_b64 s[6:7], -1
	s_waitcnt lgkmcnt(0)
	v_cndmask_b32_e64 v4, v15, v5, s[0:1]
	v_cndmask_b32_e64 v9, v8, v15, s[0:1]
	s_mov_b64 s[8:9], -1
	s_and_saveexec_b64 s[26:27], vcc
	s_cbranch_execz .LBB15_34
; %bb.31:
	v_cmp_gt_u32_e32 vcc, s17, v12
	s_mov_b64 s[28:29], 0
	s_and_saveexec_b64 s[8:9], vcc
	s_cbranch_execz .LBB15_33
; %bb.32:
	s_movk_i32 s28, 0x8000
	v_cmp_ne_u16_e32 vcc, s28, v9
	v_cndmask_b32_e32 v14, 0, v9, vcc
	v_cmp_ne_u16_e32 vcc, s28, v4
	v_cndmask_b32_e32 v15, 0, v4, vcc
	v_mov_b32_e32 v16, 0xffff8000
	v_cmp_lt_i16_e32 vcc, -1, v14
	v_cndmask_b32_e32 v17, -1, v16, vcc
	v_cmp_lt_i16_e32 vcc, -1, v15
	v_cndmask_b32_e32 v16, -1, v16, vcc
	v_xor_b32_e32 v14, v17, v14
	v_xor_b32_e32 v15, v16, v15
	v_cmp_le_u16_e32 vcc, v14, v15
	s_and_b64 s[28:29], vcc, exec
.LBB15_33:
	s_or_b64 exec, exec, s[8:9]
	s_orn2_b64 s[8:9], s[28:29], exec
.LBB15_34:
	s_or_b64 exec, exec, s[26:27]
	v_mov_b32_e32 v14, s17
	v_cndmask_b32_e64 v15, v11, v12, s[8:9]
	v_cndmask_b32_e64 v14, v10, v14, s[8:9]
	v_add_u32_e32 v18, 1, v15
	v_add_u32_e32 v14, -1, v14
	v_min_u32_e32 v14, v18, v14
	v_lshlrev_b32_e32 v14, 1, v14
	ds_read_u16 v17, v14
	v_cndmask_b32_e64 v14, v18, v11, s[8:9]
	v_cndmask_b32_e64 v12, v12, v18, s[8:9]
	v_cmp_lt_u32_e32 vcc, v14, v10
	s_waitcnt lgkmcnt(0)
	v_cndmask_b32_e64 v16, v17, v4, s[8:9]
	v_cndmask_b32_e64 v17, v9, v17, s[8:9]
	s_and_saveexec_b64 s[26:27], vcc
	s_cbranch_execz .LBB15_38
; %bb.35:
	v_cmp_gt_u32_e32 vcc, s17, v12
	s_mov_b64 s[28:29], 0
	s_and_saveexec_b64 s[6:7], vcc
	s_cbranch_execz .LBB15_37
; %bb.36:
	s_movk_i32 s28, 0x8000
	v_cmp_ne_u16_e32 vcc, s28, v17
	v_cndmask_b32_e32 v11, 0, v17, vcc
	v_cmp_ne_u16_e32 vcc, s28, v16
	v_cndmask_b32_e32 v18, 0, v16, vcc
	v_mov_b32_e32 v19, 0xffff8000
	v_cmp_lt_i16_e32 vcc, -1, v11
	v_cndmask_b32_e32 v20, -1, v19, vcc
	v_cmp_lt_i16_e32 vcc, -1, v18
	v_cndmask_b32_e32 v19, -1, v19, vcc
	v_xor_b32_e32 v11, v20, v11
	v_xor_b32_e32 v18, v19, v18
	v_cmp_le_u16_e32 vcc, v11, v18
	s_and_b64 s[28:29], vcc, exec
.LBB15_37:
	s_or_b64 exec, exec, s[6:7]
	s_orn2_b64 s[6:7], s[28:29], exec
.LBB15_38:
	s_or_b64 exec, exec, s[26:27]
	v_cndmask_b32_e64 v11, v4, v9, s[8:9]
	v_cndmask_b32_e64 v9, v5, v8, s[0:1]
	;; [unrolled: 1-line block ×5, first 2 shown]
.LBB15_39:
	s_or_b64 exec, exec, s[2:3]
	s_lshl_b64 s[0:1], s[22:23], 3
	s_add_u32 s26, s12, s0
	s_addc_u32 s27, s13, s1
	s_lshl_b64 s[0:1], s[24:25], 3
	s_add_u32 s28, s12, s0
	v_cndmask_b32_e64 v2, 0, 1, s[20:21]
	s_addc_u32 s29, s13, s1
	v_cmp_gt_u32_e64 s[4:5], s17, v0
	v_cmp_ne_u32_e64 s[0:1], 1, v2
	s_andn2_b64 vcc, exec, s[20:21]
	v_cmp_le_u32_e64 s[2:3], s17, v0
	s_barrier
	s_cbranch_vccnz .LBB15_41
; %bb.40:
	v_subrev_u32_e32 v2, s17, v0
	v_mov_b32_e32 v3, 0
	v_lshlrev_b64 v[4:5], 3, v[2:3]
	v_mov_b32_e32 v2, s29
	v_add_co_u32_e32 v4, vcc, s28, v4
	v_addc_co_u32_e32 v2, vcc, v2, v5, vcc
	v_lshlrev_b32_e32 v22, 3, v0
	v_mov_b32_e32 v5, s27
	v_add_co_u32_e32 v23, vcc, s26, v22
	v_addc_co_u32_e32 v24, vcc, 0, v5, vcc
	v_cndmask_b32_e64 v5, v2, v24, s[4:5]
	v_cndmask_b32_e64 v4, v4, v23, s[4:5]
	v_or_b32_e32 v18, 0x100, v0
	s_movk_i32 s4, 0x800
	v_add_co_u32_e32 v19, vcc, s4, v23
	v_subrev_u32_e32 v2, s17, v18
	v_addc_co_u32_e32 v20, vcc, 0, v24, vcc
	v_lshlrev_b64 v[16:17], 3, v[2:3]
	v_mov_b32_e32 v2, s29
	v_add_co_u32_e32 v16, vcc, s28, v16
	v_addc_co_u32_e32 v2, vcc, v2, v17, vcc
	v_cmp_gt_u32_e32 vcc, s17, v18
	v_cndmask_b32_e32 v17, v2, v20, vcc
	v_or_b32_e32 v20, 0x200, v0
	s_movk_i32 s4, 0x1000
	v_cndmask_b32_e32 v16, v16, v19, vcc
	v_add_co_u32_e32 v21, vcc, s4, v23
	v_subrev_u32_e32 v2, s17, v20
	global_load_dwordx2 v[18:19], v[16:17], off
	v_addc_co_u32_e32 v25, vcc, 0, v24, vcc
	v_lshlrev_b64 v[16:17], 3, v[2:3]
	v_mov_b32_e32 v2, s29
	v_add_co_u32_e32 v16, vcc, s28, v16
	v_addc_co_u32_e32 v2, vcc, v2, v17, vcc
	v_cmp_gt_u32_e32 vcc, s17, v20
	global_load_dwordx2 v[4:5], v[4:5], off
	v_cndmask_b32_e32 v17, v2, v25, vcc
	v_cndmask_b32_e32 v16, v16, v21, vcc
	global_load_dwordx2 v[20:21], v[16:17], off
	v_or_b32_e32 v17, 0x300, v0
	s_movk_i32 s4, 0x1800
	v_add_co_u32_e32 v23, vcc, s4, v23
	v_subrev_u32_e32 v2, s17, v17
	v_addc_co_u32_e32 v24, vcc, 0, v24, vcc
	v_lshlrev_b64 v[2:3], 3, v[2:3]
	v_mov_b32_e32 v25, s29
	v_add_co_u32_e32 v2, vcc, s28, v2
	v_addc_co_u32_e32 v3, vcc, v25, v3, vcc
	v_cmp_gt_u32_e32 vcc, s17, v17
	v_or_b32_e32 v16, 0x1800, v22
	v_cndmask_b32_e32 v3, v3, v24, vcc
	v_cndmask_b32_e32 v2, v2, v23, vcc
	s_mov_b64 s[4:5], -1
	s_waitcnt vmcnt(1)
	ds_write2st64_b64 v22, v[4:5], v[18:19] offset1:4
	s_waitcnt vmcnt(0)
	ds_write_b64 v22, v[20:21] offset:4096
	s_cbranch_execz .LBB15_42
	s_branch .LBB15_63
.LBB15_41:
	s_mov_b64 s[4:5], 0
                                        ; implicit-def: $vgpr16
                                        ; implicit-def: $vgpr2_vgpr3
.LBB15_42:
	s_mov_b64 s[6:7], 0
                                        ; implicit-def: $vgpr2_vgpr3
	s_and_saveexec_b64 s[8:9], s[2:3]
	s_xor_b64 s[2:3], exec, s[8:9]
	s_cbranch_execz .LBB15_67
; %bb.43:
	v_subrev_u32_e32 v4, s17, v0
	v_cmp_gt_u32_e32 vcc, s19, v4
                                        ; implicit-def: $vgpr2_vgpr3
	s_and_saveexec_b64 s[8:9], vcc
	s_xor_b64 s[8:9], exec, s[8:9]
; %bb.44:
	v_mov_b32_e32 v5, 0
	v_lshlrev_b64 v[2:3], 3, v[4:5]
	v_mov_b32_e32 v4, s29
	v_add_co_u32_e32 v2, vcc, s28, v2
	s_mov_b64 s[6:7], exec
	v_addc_co_u32_e32 v3, vcc, v4, v3, vcc
; %bb.45:
	s_or_b64 exec, exec, s[8:9]
	s_and_b64 s[6:7], s[6:7], exec
	s_andn2_saveexec_b64 s[2:3], s[2:3]
	s_cbranch_execnz .LBB15_68
.LBB15_46:
	s_or_b64 exec, exec, s[2:3]
	v_mad_u32_u24 v16, v0, 6, v1
	s_and_saveexec_b64 s[2:3], s[6:7]
	s_cbranch_execz .LBB15_48
.LBB15_47:
	global_load_dwordx2 v[2:3], v[2:3], off
	s_waitcnt vmcnt(0)
	ds_write_b64 v16, v[2:3]
.LBB15_48:
	s_or_b64 exec, exec, s[2:3]
	v_or_b32_e32 v2, 0x100, v0
	v_cmp_le_u32_e32 vcc, s17, v2
	s_mov_b64 s[6:7], -1
	v_pk_mov_b32 v[4:5], s[22:23], s[22:23] op_sel:[0,1]
	s_and_saveexec_b64 s[2:3], vcc
; %bb.49:
	v_subrev_u32_e32 v2, s17, v2
	v_cmp_gt_u32_e32 vcc, s19, v2
	v_pk_mov_b32 v[4:5], s[24:25], s[24:25] op_sel:[0,1]
	s_orn2_b64 s[6:7], vcc, exec
; %bb.50:
	s_or_b64 exec, exec, s[2:3]
	s_and_saveexec_b64 s[2:3], s[6:7]
	s_cbranch_execz .LBB15_52
; %bb.51:
	v_lshlrev_b64 v[4:5], 3, v[4:5]
	v_mov_b32_e32 v3, s13
	v_add_co_u32_e32 v4, vcc, s12, v4
	v_addc_co_u32_e32 v5, vcc, v3, v5, vcc
	v_mov_b32_e32 v3, 0
	v_lshlrev_b64 v[2:3], 3, v[2:3]
	v_add_co_u32_e32 v2, vcc, v4, v2
	v_addc_co_u32_e32 v3, vcc, v5, v3, vcc
	global_load_dwordx2 v[2:3], v[2:3], off
	s_waitcnt vmcnt(0)
	ds_write_b64 v16, v[2:3] offset:2048
.LBB15_52:
	s_or_b64 exec, exec, s[2:3]
	v_or_b32_e32 v2, 0x200, v0
	v_cmp_le_u32_e32 vcc, s17, v2
	s_mov_b64 s[6:7], -1
	v_pk_mov_b32 v[4:5], s[22:23], s[22:23] op_sel:[0,1]
	s_and_saveexec_b64 s[2:3], vcc
; %bb.53:
	v_subrev_u32_e32 v2, s17, v2
	v_cmp_gt_u32_e32 vcc, s19, v2
	v_pk_mov_b32 v[4:5], s[24:25], s[24:25] op_sel:[0,1]
	s_orn2_b64 s[6:7], vcc, exec
; %bb.54:
	s_or_b64 exec, exec, s[2:3]
	s_and_saveexec_b64 s[2:3], s[6:7]
	s_cbranch_execz .LBB15_56
; %bb.55:
	v_lshlrev_b64 v[4:5], 3, v[4:5]
	v_mov_b32_e32 v3, s13
	v_add_co_u32_e32 v4, vcc, s12, v4
	v_addc_co_u32_e32 v5, vcc, v3, v5, vcc
	v_mov_b32_e32 v3, 0
	v_lshlrev_b64 v[2:3], 3, v[2:3]
	v_add_co_u32_e32 v2, vcc, v4, v2
	v_addc_co_u32_e32 v3, vcc, v5, v3, vcc
	global_load_dwordx2 v[2:3], v[2:3], off
	s_waitcnt vmcnt(0)
	ds_write_b64 v16, v[2:3] offset:4096
.LBB15_56:
	s_or_b64 exec, exec, s[2:3]
	v_or_b32_e32 v4, 0x300, v0
	v_cmp_le_u32_e32 vcc, s17, v4
                                        ; implicit-def: $vgpr16
                                        ; implicit-def: $vgpr2_vgpr3
	s_and_saveexec_b64 s[2:3], vcc
	s_xor_b64 s[2:3], exec, s[2:3]
	s_cbranch_execz .LBB15_60
; %bb.57:
	v_subrev_u32_e32 v4, s17, v4
	v_cmp_gt_u32_e32 vcc, s19, v4
	s_mov_b64 s[8:9], s[4:5]
                                        ; implicit-def: $vgpr16
                                        ; implicit-def: $vgpr2_vgpr3
	s_and_saveexec_b64 s[6:7], vcc
; %bb.58:
	v_mul_u32_u24_e32 v2, 6, v0
	s_movk_i32 s8, 0x1800
	v_mov_b32_e32 v5, 0
	v_add3_u32 v16, v1, v2, s8
	v_lshlrev_b64 v[2:3], 3, v[4:5]
	v_mov_b32_e32 v4, s29
	v_add_co_u32_e32 v2, vcc, s28, v2
	v_addc_co_u32_e32 v3, vcc, v4, v3, vcc
	s_or_b64 s[8:9], s[4:5], exec
; %bb.59:
	s_or_b64 exec, exec, s[6:7]
	s_andn2_b64 s[4:5], s[4:5], exec
	s_and_b64 s[6:7], s[8:9], exec
	s_or_b64 s[4:5], s[4:5], s[6:7]
                                        ; implicit-def: $vgpr4
.LBB15_60:
	s_andn2_saveexec_b64 s[2:3], s[2:3]
; %bb.61:
	v_lshlrev_b32_e32 v2, 3, v4
	v_mov_b32_e32 v3, s27
	v_add_co_u32_e32 v2, vcc, s26, v2
	v_mul_u32_u24_e32 v4, 6, v0
	s_movk_i32 s6, 0x1800
	v_addc_co_u32_e32 v3, vcc, 0, v3, vcc
	v_add3_u32 v16, v1, v4, s6
	s_or_b64 s[4:5], s[4:5], exec
; %bb.62:
	s_or_b64 exec, exec, s[2:3]
.LBB15_63:
	s_and_saveexec_b64 s[2:3], s[4:5]
	s_cbranch_execz .LBB15_65
; %bb.64:
	global_load_dwordx2 v[2:3], v[2:3], off
	s_waitcnt vmcnt(0)
	ds_write_b64 v16, v[2:3]
.LBB15_65:
	s_or_b64 exec, exec, s[2:3]
	s_and_b64 vcc, exec, s[0:1]
	v_add_u32_e32 v2, s18, v6
	s_waitcnt lgkmcnt(0)
	s_barrier
	s_cbranch_vccnz .LBB15_69
; %bb.66:
	v_lshlrev_b32_e32 v16, 3, v7
	v_lshlrev_b32_e32 v18, 3, v13
	;; [unrolled: 1-line block ×3, first 2 shown]
	ds_read_b64 v[16:17], v16
	ds_read_b64 v[18:19], v18
	;; [unrolled: 1-line block ×3, first 2 shown]
	v_mov_b32_e32 v3, 0
	v_lshlrev_b64 v[4:5], 3, v[2:3]
	v_mov_b32_e32 v22, s15
	v_add_co_u32_e32 v4, vcc, s14, v4
	v_addc_co_u32_e32 v5, vcc, v22, v5, vcc
	s_mov_b64 s[0:1], -1
	s_waitcnt lgkmcnt(1)
	global_store_dwordx4 v[4:5], v[16:19], off
	s_waitcnt lgkmcnt(0)
	global_store_dwordx2 v[4:5], v[20:21], off offset:16
	s_cbranch_execz .LBB15_70
	s_branch .LBB15_79
.LBB15_67:
	s_andn2_saveexec_b64 s[2:3], s[2:3]
	s_cbranch_execz .LBB15_46
.LBB15_68:
	v_lshlrev_b32_e32 v2, 3, v0
	v_mov_b32_e32 v3, s27
	v_add_co_u32_e32 v2, vcc, s26, v2
	v_addc_co_u32_e32 v3, vcc, 0, v3, vcc
	s_or_b64 s[6:7], s[6:7], exec
	s_or_b64 exec, exec, s[2:3]
	v_mad_u32_u24 v16, v0, 6, v1
	s_and_saveexec_b64 s[2:3], s[6:7]
	s_cbranch_execnz .LBB15_47
	s_branch .LBB15_48
.LBB15_69:
	s_mov_b64 s[0:1], 0
.LBB15_70:
	v_cmp_lt_u32_e32 vcc, v6, v10
	s_and_saveexec_b64 s[2:3], vcc
	s_cbranch_execz .LBB15_72
; %bb.71:
	v_lshlrev_b32_e32 v7, 3, v7
	ds_read_b64 v[16:17], v7
	v_mov_b32_e32 v3, 0
	v_lshlrev_b64 v[4:5], 3, v[2:3]
	v_mov_b32_e32 v3, s15
	v_add_co_u32_e32 v4, vcc, s14, v4
	v_addc_co_u32_e32 v5, vcc, v3, v5, vcc
	s_waitcnt lgkmcnt(0)
	global_store_dwordx2 v[4:5], v[16:17], off
.LBB15_72:
	s_or_b64 exec, exec, s[2:3]
	v_or_b32_e32 v3, 1, v6
	v_cmp_lt_u32_e32 vcc, v3, v10
	s_and_saveexec_b64 s[2:3], vcc
	s_cbranch_execz .LBB15_74
; %bb.73:
	v_lshlrev_b32_e32 v7, 3, v13
	ds_read_b64 v[16:17], v7
	v_mov_b32_e32 v3, 0
	v_lshlrev_b64 v[4:5], 3, v[2:3]
	v_mov_b32_e32 v3, s15
	v_add_co_u32_e32 v4, vcc, s14, v4
	v_addc_co_u32_e32 v5, vcc, v3, v5, vcc
	s_waitcnt lgkmcnt(0)
	global_store_dwordx2 v[4:5], v[16:17], off offset:8
.LBB15_74:
	s_or_b64 exec, exec, s[2:3]
	v_or_b32_e32 v3, 2, v6
	v_cmp_lt_u32_e32 vcc, v3, v10
	s_and_saveexec_b64 s[2:3], vcc
	s_cbranch_execz .LBB15_76
; %bb.75:
	v_lshlrev_b32_e32 v7, 3, v15
	ds_read_b64 v[16:17], v7
	v_mov_b32_e32 v3, 0
	v_lshlrev_b64 v[4:5], 3, v[2:3]
	v_mov_b32_e32 v3, s15
	v_add_co_u32_e32 v4, vcc, s14, v4
	v_addc_co_u32_e32 v5, vcc, v3, v5, vcc
	s_waitcnt lgkmcnt(0)
	global_store_dwordx2 v[4:5], v[16:17], off offset:16
.LBB15_76:
	s_or_b64 exec, exec, s[2:3]
	v_or_b32_e32 v3, 3, v6
	v_cmp_lt_u32_e32 vcc, v3, v10
	s_and_saveexec_b64 s[2:3], vcc
; %bb.77:
	v_mov_b32_e32 v3, 0
	s_or_b64 s[0:1], s[0:1], exec
; %bb.78:
	s_or_b64 exec, exec, s[2:3]
.LBB15_79:
	s_and_saveexec_b64 s[2:3], s[0:1]
	s_cbranch_execz .LBB15_81
; %bb.80:
	v_lshlrev_b32_e32 v4, 3, v14
	ds_read_b64 v[4:5], v4
	v_lshlrev_b64 v[2:3], 3, v[2:3]
	v_mov_b32_e32 v7, s15
	v_add_co_u32_e32 v2, vcc, s14, v2
	v_addc_co_u32_e32 v3, vcc, v7, v3, vcc
	s_waitcnt lgkmcnt(0)
	global_store_dwordx2 v[2:3], v[4:5], off offset:24
.LBB15_81:
	s_or_b64 exec, exec, s[2:3]
	v_lshrrev_b32_e32 v2, 3, v0
	v_and_b32_e32 v2, 30, v2
	s_mov_b32 s2, 0x5040100
	v_add_lshl_u32 v2, v2, v6, 1
	v_perm_b32 v3, v12, v11, s2
	v_perm_b32 v4, v9, v8, s2
	s_barrier
	s_barrier
	ds_write2_b32 v2, v4, v3 offset1:1
	v_lshrrev_b32_e32 v2, 4, v0
	v_and_b32_e32 v2, 12, v2
	v_or_b32_e32 v6, 0x100, v0
	v_add_u32_e32 v7, v1, v2
	v_lshrrev_b32_e32 v2, 4, v6
	v_and_b32_e32 v2, 28, v2
	v_or_b32_e32 v5, 0x200, v0
	s_mov_b32 s19, 0
	v_add_u32_e32 v8, v1, v2
	v_lshrrev_b32_e32 v2, 4, v5
	s_lshl_b64 s[0:1], s[18:19], 1
	v_and_b32_e32 v2, 44, v2
	v_or_b32_e32 v4, 0x300, v0
	s_add_u32 s0, s10, s0
	v_add_u32_e32 v9, v1, v2
	v_lshrrev_b32_e32 v2, 4, v4
	s_addc_u32 s1, s11, s1
	v_and_b32_e32 v2, 60, v2
	v_add_u32_e32 v10, v1, v2
	v_mov_b32_e32 v3, s1
	v_add_co_u32_e32 v2, vcc, s0, v1
	v_addc_co_u32_e32 v3, vcc, 0, v3, vcc
	s_and_b64 vcc, exec, s[20:21]
	s_waitcnt lgkmcnt(0)
	s_cbranch_vccz .LBB15_83
; %bb.82:
	s_barrier
	ds_read_u16 v11, v7
	ds_read_u16 v12, v8 offset:512
	ds_read_u16 v13, v9 offset:1024
	;; [unrolled: 1-line block ×3, first 2 shown]
	s_waitcnt lgkmcnt(3)
	global_store_short v[2:3], v11, off
	s_waitcnt lgkmcnt(2)
	global_store_short v[2:3], v12, off offset:512
	s_waitcnt lgkmcnt(1)
	global_store_short v[2:3], v13, off offset:1024
	s_mov_b64 s[0:1], -1
	s_cbranch_execz .LBB15_84
	s_branch .LBB15_89
.LBB15_83:
	s_mov_b64 s[0:1], 0
                                        ; implicit-def: $vgpr1
.LBB15_84:
	s_barrier
	s_waitcnt lgkmcnt(0)
	ds_read_u16 v11, v8 offset:512
	ds_read_u16 v8, v9 offset:1024
	;; [unrolled: 1-line block ×3, first 2 shown]
	s_sub_i32 s2, s16, s18
	v_cmp_gt_u32_e32 vcc, s2, v0
	s_and_saveexec_b64 s[0:1], vcc
	s_cbranch_execz .LBB15_92
; %bb.85:
	ds_read_u16 v0, v7
	s_waitcnt lgkmcnt(0)
	global_store_short v[2:3], v0, off
	s_or_b64 exec, exec, s[0:1]
	v_cmp_gt_u32_e32 vcc, s2, v6
	s_and_saveexec_b64 s[0:1], vcc
	s_cbranch_execnz .LBB15_93
.LBB15_86:
	s_or_b64 exec, exec, s[0:1]
	v_cmp_gt_u32_e32 vcc, s2, v5
	s_and_saveexec_b64 s[0:1], vcc
	s_cbranch_execz .LBB15_88
.LBB15_87:
	s_waitcnt lgkmcnt(1)
	global_store_short v[2:3], v8, off offset:1024
.LBB15_88:
	s_or_b64 exec, exec, s[0:1]
	v_cmp_gt_u32_e64 s[0:1], s2, v4
.LBB15_89:
	s_and_saveexec_b64 s[2:3], s[0:1]
	s_cbranch_execz .LBB15_91
; %bb.90:
	s_waitcnt lgkmcnt(0)
	global_store_short v[2:3], v1, off offset:1536
.LBB15_91:
	s_endpgm
.LBB15_92:
	s_or_b64 exec, exec, s[0:1]
	v_cmp_gt_u32_e32 vcc, s2, v6
	s_and_saveexec_b64 s[0:1], vcc
	s_cbranch_execz .LBB15_86
.LBB15_93:
	s_waitcnt lgkmcnt(2)
	global_store_short v[2:3], v11, off offset:512
	s_or_b64 exec, exec, s[0:1]
	v_cmp_gt_u32_e32 vcc, s2, v5
	s_and_saveexec_b64 s[0:1], vcc
	s_cbranch_execnz .LBB15_87
	s_branch .LBB15_88
	.section	.rodata,"a",@progbits
	.p2align	6, 0x0
	.amdhsa_kernel _ZN7rocprim17ROCPRIM_304000_NS6detail35device_block_merge_mergepath_kernelINS1_37wrapped_merge_sort_block_merge_configINS0_14default_configE12hip_bfloat16N2at4cuda3cub6detail10OpaqueTypeILi8EEEEEPS5_SD_PSB_SE_jNS1_19radix_merge_compareILb0ELb0ES5_NS0_19identity_decomposerEEEEEvT0_T1_T2_T3_T4_SM_jT5_PKSM_NS1_7vsmem_tE
		.amdhsa_group_segment_fixed_size 8208
		.amdhsa_private_segment_fixed_size 0
		.amdhsa_kernarg_size 320
		.amdhsa_user_sgpr_count 6
		.amdhsa_user_sgpr_private_segment_buffer 1
		.amdhsa_user_sgpr_dispatch_ptr 0
		.amdhsa_user_sgpr_queue_ptr 0
		.amdhsa_user_sgpr_kernarg_segment_ptr 1
		.amdhsa_user_sgpr_dispatch_id 0
		.amdhsa_user_sgpr_flat_scratch_init 0
		.amdhsa_user_sgpr_kernarg_preload_length 0
		.amdhsa_user_sgpr_kernarg_preload_offset 0
		.amdhsa_user_sgpr_private_segment_size 0
		.amdhsa_uses_dynamic_stack 0
		.amdhsa_system_sgpr_private_segment_wavefront_offset 0
		.amdhsa_system_sgpr_workgroup_id_x 1
		.amdhsa_system_sgpr_workgroup_id_y 1
		.amdhsa_system_sgpr_workgroup_id_z 1
		.amdhsa_system_sgpr_workgroup_info 0
		.amdhsa_system_vgpr_workitem_id 0
		.amdhsa_next_free_vgpr 26
		.amdhsa_next_free_sgpr 30
		.amdhsa_accum_offset 28
		.amdhsa_reserve_vcc 1
		.amdhsa_reserve_flat_scratch 0
		.amdhsa_float_round_mode_32 0
		.amdhsa_float_round_mode_16_64 0
		.amdhsa_float_denorm_mode_32 3
		.amdhsa_float_denorm_mode_16_64 3
		.amdhsa_dx10_clamp 1
		.amdhsa_ieee_mode 1
		.amdhsa_fp16_overflow 0
		.amdhsa_tg_split 0
		.amdhsa_exception_fp_ieee_invalid_op 0
		.amdhsa_exception_fp_denorm_src 0
		.amdhsa_exception_fp_ieee_div_zero 0
		.amdhsa_exception_fp_ieee_overflow 0
		.amdhsa_exception_fp_ieee_underflow 0
		.amdhsa_exception_fp_ieee_inexact 0
		.amdhsa_exception_int_div_zero 0
	.end_amdhsa_kernel
	.section	.text._ZN7rocprim17ROCPRIM_304000_NS6detail35device_block_merge_mergepath_kernelINS1_37wrapped_merge_sort_block_merge_configINS0_14default_configE12hip_bfloat16N2at4cuda3cub6detail10OpaqueTypeILi8EEEEEPS5_SD_PSB_SE_jNS1_19radix_merge_compareILb0ELb0ES5_NS0_19identity_decomposerEEEEEvT0_T1_T2_T3_T4_SM_jT5_PKSM_NS1_7vsmem_tE,"axG",@progbits,_ZN7rocprim17ROCPRIM_304000_NS6detail35device_block_merge_mergepath_kernelINS1_37wrapped_merge_sort_block_merge_configINS0_14default_configE12hip_bfloat16N2at4cuda3cub6detail10OpaqueTypeILi8EEEEEPS5_SD_PSB_SE_jNS1_19radix_merge_compareILb0ELb0ES5_NS0_19identity_decomposerEEEEEvT0_T1_T2_T3_T4_SM_jT5_PKSM_NS1_7vsmem_tE,comdat
.Lfunc_end15:
	.size	_ZN7rocprim17ROCPRIM_304000_NS6detail35device_block_merge_mergepath_kernelINS1_37wrapped_merge_sort_block_merge_configINS0_14default_configE12hip_bfloat16N2at4cuda3cub6detail10OpaqueTypeILi8EEEEEPS5_SD_PSB_SE_jNS1_19radix_merge_compareILb0ELb0ES5_NS0_19identity_decomposerEEEEEvT0_T1_T2_T3_T4_SM_jT5_PKSM_NS1_7vsmem_tE, .Lfunc_end15-_ZN7rocprim17ROCPRIM_304000_NS6detail35device_block_merge_mergepath_kernelINS1_37wrapped_merge_sort_block_merge_configINS0_14default_configE12hip_bfloat16N2at4cuda3cub6detail10OpaqueTypeILi8EEEEEPS5_SD_PSB_SE_jNS1_19radix_merge_compareILb0ELb0ES5_NS0_19identity_decomposerEEEEEvT0_T1_T2_T3_T4_SM_jT5_PKSM_NS1_7vsmem_tE
                                        ; -- End function
	.section	.AMDGPU.csdata,"",@progbits
; Kernel info:
; codeLenInByte = 3860
; NumSgprs: 34
; NumVgprs: 26
; NumAgprs: 0
; TotalNumVgprs: 26
; ScratchSize: 0
; MemoryBound: 1
; FloatMode: 240
; IeeeMode: 1
; LDSByteSize: 8208 bytes/workgroup (compile time only)
; SGPRBlocks: 4
; VGPRBlocks: 3
; NumSGPRsForWavesPerEU: 34
; NumVGPRsForWavesPerEU: 26
; AccumOffset: 28
; Occupancy: 7
; WaveLimiterHint : 1
; COMPUTE_PGM_RSRC2:SCRATCH_EN: 0
; COMPUTE_PGM_RSRC2:USER_SGPR: 6
; COMPUTE_PGM_RSRC2:TRAP_HANDLER: 0
; COMPUTE_PGM_RSRC2:TGID_X_EN: 1
; COMPUTE_PGM_RSRC2:TGID_Y_EN: 1
; COMPUTE_PGM_RSRC2:TGID_Z_EN: 1
; COMPUTE_PGM_RSRC2:TIDIG_COMP_CNT: 0
; COMPUTE_PGM_RSRC3_GFX90A:ACCUM_OFFSET: 6
; COMPUTE_PGM_RSRC3_GFX90A:TG_SPLIT: 0
	.section	.text._ZN7rocprim17ROCPRIM_304000_NS6detail33device_block_merge_oddeven_kernelINS1_37wrapped_merge_sort_block_merge_configINS0_14default_configE12hip_bfloat16N2at4cuda3cub6detail10OpaqueTypeILi8EEEEEPS5_SD_PSB_SE_jNS1_19radix_merge_compareILb0ELb0ES5_NS0_19identity_decomposerEEEEEvT0_T1_T2_T3_T4_SM_T5_,"axG",@progbits,_ZN7rocprim17ROCPRIM_304000_NS6detail33device_block_merge_oddeven_kernelINS1_37wrapped_merge_sort_block_merge_configINS0_14default_configE12hip_bfloat16N2at4cuda3cub6detail10OpaqueTypeILi8EEEEEPS5_SD_PSB_SE_jNS1_19radix_merge_compareILb0ELb0ES5_NS0_19identity_decomposerEEEEEvT0_T1_T2_T3_T4_SM_T5_,comdat
	.protected	_ZN7rocprim17ROCPRIM_304000_NS6detail33device_block_merge_oddeven_kernelINS1_37wrapped_merge_sort_block_merge_configINS0_14default_configE12hip_bfloat16N2at4cuda3cub6detail10OpaqueTypeILi8EEEEEPS5_SD_PSB_SE_jNS1_19radix_merge_compareILb0ELb0ES5_NS0_19identity_decomposerEEEEEvT0_T1_T2_T3_T4_SM_T5_ ; -- Begin function _ZN7rocprim17ROCPRIM_304000_NS6detail33device_block_merge_oddeven_kernelINS1_37wrapped_merge_sort_block_merge_configINS0_14default_configE12hip_bfloat16N2at4cuda3cub6detail10OpaqueTypeILi8EEEEEPS5_SD_PSB_SE_jNS1_19radix_merge_compareILb0ELb0ES5_NS0_19identity_decomposerEEEEEvT0_T1_T2_T3_T4_SM_T5_
	.globl	_ZN7rocprim17ROCPRIM_304000_NS6detail33device_block_merge_oddeven_kernelINS1_37wrapped_merge_sort_block_merge_configINS0_14default_configE12hip_bfloat16N2at4cuda3cub6detail10OpaqueTypeILi8EEEEEPS5_SD_PSB_SE_jNS1_19radix_merge_compareILb0ELb0ES5_NS0_19identity_decomposerEEEEEvT0_T1_T2_T3_T4_SM_T5_
	.p2align	8
	.type	_ZN7rocprim17ROCPRIM_304000_NS6detail33device_block_merge_oddeven_kernelINS1_37wrapped_merge_sort_block_merge_configINS0_14default_configE12hip_bfloat16N2at4cuda3cub6detail10OpaqueTypeILi8EEEEEPS5_SD_PSB_SE_jNS1_19radix_merge_compareILb0ELb0ES5_NS0_19identity_decomposerEEEEEvT0_T1_T2_T3_T4_SM_T5_,@function
_ZN7rocprim17ROCPRIM_304000_NS6detail33device_block_merge_oddeven_kernelINS1_37wrapped_merge_sort_block_merge_configINS0_14default_configE12hip_bfloat16N2at4cuda3cub6detail10OpaqueTypeILi8EEEEEPS5_SD_PSB_SE_jNS1_19radix_merge_compareILb0ELb0ES5_NS0_19identity_decomposerEEEEEvT0_T1_T2_T3_T4_SM_T5_: ; @_ZN7rocprim17ROCPRIM_304000_NS6detail33device_block_merge_oddeven_kernelINS1_37wrapped_merge_sort_block_merge_configINS0_14default_configE12hip_bfloat16N2at4cuda3cub6detail10OpaqueTypeILi8EEEEEPS5_SD_PSB_SE_jNS1_19radix_merge_compareILb0ELb0ES5_NS0_19identity_decomposerEEEEEvT0_T1_T2_T3_T4_SM_T5_
; %bb.0:
	s_load_dwordx2 s[16:17], s[4:5], 0x20
	s_waitcnt lgkmcnt(0)
	s_lshr_b32 s2, s16, 8
	s_cmp_lg_u32 s6, s2
	s_cselect_b64 s[0:1], -1, 0
	s_cmp_eq_u32 s6, s2
	s_cselect_b64 s[18:19], -1, 0
	s_lshl_b32 s20, s6, 8
	s_sub_i32 s2, s16, s20
	v_cmp_gt_u32_e64 s[2:3], s2, v0
	s_or_b64 s[0:1], s[0:1], s[2:3]
	s_and_saveexec_b64 s[8:9], s[0:1]
	s_cbranch_execz .LBB16_26
; %bb.1:
	s_load_dwordx8 s[8:15], s[4:5], 0x0
	s_mov_b32 s21, 0
	s_lshl_b64 s[0:1], s[20:21], 1
	v_lshlrev_b32_e32 v4, 3, v0
	v_lshlrev_b32_e32 v1, 1, v0
	s_waitcnt lgkmcnt(0)
	s_add_u32 s0, s8, s0
	s_addc_u32 s1, s9, s1
	s_lshl_b64 s[4:5], s[20:21], 3
	s_add_u32 s4, s12, s4
	s_addc_u32 s5, s13, s5
	global_load_dwordx2 v[2:3], v4, s[4:5]
	global_load_ushort v6, v1, s[0:1]
	s_lshr_b32 s0, s17, 8
	s_sub_i32 s1, 0, s0
	s_and_b32 s1, s6, s1
	s_and_b32 s0, s1, s0
	s_lshl_b32 s22, s1, 8
	s_sub_i32 s6, 0, s17
	s_cmp_eq_u32 s0, 0
	s_cselect_b64 s[0:1], -1, 0
	s_and_b64 s[4:5], s[0:1], exec
	s_cselect_b32 s21, s17, s6
	s_add_i32 s21, s21, s22
	s_cmp_lt_u32 s21, s16
	v_add_u32_e32 v4, s20, v0
	s_cbranch_scc1 .LBB16_6
; %bb.2:
	s_and_b64 vcc, exec, s[18:19]
	s_cbranch_vccz .LBB16_7
; %bb.3:
	v_cmp_gt_u32_e32 vcc, s16, v4
	s_mov_b64 s[6:7], 0
	s_mov_b64 s[4:5], 0
                                        ; implicit-def: $vgpr0_vgpr1
	s_and_saveexec_b64 s[12:13], vcc
	s_cbranch_execz .LBB16_5
; %bb.4:
	v_mov_b32_e32 v5, 0
	v_lshlrev_b64 v[0:1], 3, v[4:5]
	v_mov_b32_e32 v7, s15
	v_add_co_u32_e32 v0, vcc, s14, v0
	v_addc_co_u32_e32 v1, vcc, v7, v1, vcc
	v_lshlrev_b64 v[8:9], 1, v[4:5]
	v_mov_b32_e32 v5, s11
	v_add_co_u32_e32 v8, vcc, s10, v8
	s_mov_b64 s[4:5], exec
	v_addc_co_u32_e32 v9, vcc, v5, v9, vcc
	s_waitcnt vmcnt(0)
	global_store_short v[8:9], v6, off
.LBB16_5:
	s_or_b64 exec, exec, s[12:13]
	s_and_b64 vcc, exec, s[6:7]
	s_cbranch_vccnz .LBB16_8
	s_branch .LBB16_9
.LBB16_6:
	s_mov_b64 s[4:5], 0
                                        ; implicit-def: $vgpr0_vgpr1
	s_cbranch_execnz .LBB16_10
	s_branch .LBB16_24
.LBB16_7:
	s_mov_b64 s[4:5], 0
                                        ; implicit-def: $vgpr0_vgpr1
	s_cbranch_execz .LBB16_9
.LBB16_8:
	v_mov_b32_e32 v5, 0
	v_lshlrev_b64 v[0:1], 1, v[4:5]
	v_mov_b32_e32 v7, s11
	v_add_co_u32_e32 v0, vcc, s10, v0
	v_addc_co_u32_e32 v1, vcc, v7, v1, vcc
	s_waitcnt vmcnt(0)
	global_store_short v[0:1], v6, off
	v_lshlrev_b64 v[0:1], 3, v[4:5]
	v_mov_b32_e32 v5, s15
	v_add_co_u32_e32 v0, vcc, s14, v0
	v_addc_co_u32_e32 v1, vcc, v5, v1, vcc
	s_or_b64 s[4:5], s[4:5], exec
.LBB16_9:
	s_branch .LBB16_24
.LBB16_10:
	s_min_u32 s12, s21, s16
	s_add_i32 s6, s12, s17
	s_min_u32 s13, s6, s16
	s_min_u32 s6, s22, s12
	s_add_i32 s22, s22, s12
	v_subrev_u32_e32 v0, s22, v4
	v_add_u32_e32 v4, s6, v0
	s_and_b64 vcc, exec, s[18:19]
	s_cbranch_vccz .LBB16_18
; %bb.11:
                                        ; implicit-def: $vgpr0_vgpr1
	s_and_saveexec_b64 s[6:7], s[2:3]
	s_cbranch_execz .LBB16_17
; %bb.12:
	s_cmp_ge_u32 s21, s13
	v_mov_b32_e32 v0, s12
	s_cbranch_scc1 .LBB16_16
; %bb.13:
	s_movk_i32 s16, 0x8000
	s_waitcnt vmcnt(0)
	v_cmp_ne_u16_e32 vcc, s16, v6
	v_cndmask_b32_e32 v0, 0, v6, vcc
	v_mov_b32_e32 v1, 0xffff8000
	v_cmp_lt_i16_e32 vcc, -1, v0
	v_cndmask_b32_e32 v5, -1, v1, vcc
	v_xor_b32_e32 v5, v5, v0
	s_mov_b64 s[2:3], 0
	v_mov_b32_e32 v7, s13
	v_mov_b32_e32 v0, s12
.LBB16_14:                              ; =>This Inner Loop Header: Depth=1
	v_add_u32_e32 v8, v0, v7
	v_and_b32_e32 v9, -2, v8
	global_load_ushort v9, v9, s[8:9]
	v_lshrrev_b32_e32 v8, 1, v8
	v_add_u32_e32 v10, 1, v8
	s_waitcnt vmcnt(0)
	v_cmp_ne_u16_e32 vcc, s16, v9
	v_cndmask_b32_e32 v9, 0, v9, vcc
	v_cmp_lt_i16_e32 vcc, -1, v9
	v_cndmask_b32_e32 v11, -1, v1, vcc
	v_xor_b32_e32 v9, v11, v9
	v_cmp_gt_u16_e32 vcc, v5, v9
	v_cndmask_b32_e64 v11, 0, 1, vcc
	v_cmp_le_u16_e32 vcc, v9, v5
	v_cndmask_b32_e64 v9, 0, 1, vcc
	v_cndmask_b32_e64 v9, v9, v11, s[0:1]
	v_and_b32_e32 v9, 1, v9
	v_cmp_eq_u32_e32 vcc, 1, v9
	v_cndmask_b32_e32 v7, v8, v7, vcc
	v_cndmask_b32_e32 v0, v0, v10, vcc
	v_cmp_ge_u32_e32 vcc, v0, v7
	s_or_b64 s[2:3], vcc, s[2:3]
	s_andn2_b64 exec, exec, s[2:3]
	s_cbranch_execnz .LBB16_14
; %bb.15:
	s_or_b64 exec, exec, s[2:3]
.LBB16_16:
	v_add_u32_e32 v0, v0, v4
	v_mov_b32_e32 v1, 0
	v_lshlrev_b64 v[8:9], 1, v[0:1]
	v_mov_b32_e32 v5, s11
	v_add_co_u32_e32 v8, vcc, s10, v8
	v_addc_co_u32_e32 v9, vcc, v5, v9, vcc
	v_lshlrev_b64 v[0:1], 3, v[0:1]
	v_mov_b32_e32 v5, s15
	v_add_co_u32_e32 v0, vcc, s14, v0
	s_waitcnt vmcnt(0)
	global_store_short v[8:9], v6, off
	v_addc_co_u32_e32 v1, vcc, v5, v1, vcc
	s_or_b64 s[4:5], s[4:5], exec
.LBB16_17:
	s_or_b64 exec, exec, s[6:7]
	s_branch .LBB16_24
.LBB16_18:
                                        ; implicit-def: $vgpr0_vgpr1
	s_cbranch_execz .LBB16_24
; %bb.19:
	s_cmp_ge_u32 s21, s13
	v_mov_b32_e32 v0, s12
	s_cbranch_scc1 .LBB16_23
; %bb.20:
	s_movk_i32 s4, 0x8000
	s_waitcnt vmcnt(0)
	v_cmp_ne_u16_e32 vcc, s4, v6
	v_cndmask_b32_e32 v0, 0, v6, vcc
	v_mov_b32_e32 v1, 0xffff8000
	v_cmp_lt_i16_e32 vcc, -1, v0
	v_cndmask_b32_e32 v5, -1, v1, vcc
	v_xor_b32_e32 v5, v5, v0
	s_mov_b64 s[2:3], 0
	v_mov_b32_e32 v7, s13
	v_mov_b32_e32 v0, s12
.LBB16_21:                              ; =>This Inner Loop Header: Depth=1
	v_add_u32_e32 v8, v0, v7
	v_and_b32_e32 v9, -2, v8
	global_load_ushort v9, v9, s[8:9]
	v_lshrrev_b32_e32 v8, 1, v8
	v_add_u32_e32 v10, 1, v8
	s_waitcnt vmcnt(0)
	v_cmp_ne_u16_e32 vcc, s4, v9
	v_cndmask_b32_e32 v9, 0, v9, vcc
	v_cmp_lt_i16_e32 vcc, -1, v9
	v_cndmask_b32_e32 v11, -1, v1, vcc
	v_xor_b32_e32 v9, v11, v9
	v_cmp_gt_u16_e32 vcc, v5, v9
	v_cndmask_b32_e64 v11, 0, 1, vcc
	v_cmp_le_u16_e32 vcc, v9, v5
	v_cndmask_b32_e64 v9, 0, 1, vcc
	v_cndmask_b32_e64 v9, v9, v11, s[0:1]
	v_and_b32_e32 v9, 1, v9
	v_cmp_eq_u32_e32 vcc, 1, v9
	v_cndmask_b32_e32 v7, v8, v7, vcc
	v_cndmask_b32_e32 v0, v0, v10, vcc
	v_cmp_ge_u32_e32 vcc, v0, v7
	s_or_b64 s[2:3], vcc, s[2:3]
	s_andn2_b64 exec, exec, s[2:3]
	s_cbranch_execnz .LBB16_21
; %bb.22:
	s_or_b64 exec, exec, s[2:3]
.LBB16_23:
	v_add_u32_e32 v0, v0, v4
	v_mov_b32_e32 v1, 0
	v_lshlrev_b64 v[4:5], 1, v[0:1]
	v_mov_b32_e32 v7, s11
	v_add_co_u32_e32 v4, vcc, s10, v4
	v_addc_co_u32_e32 v5, vcc, v7, v5, vcc
	v_lshlrev_b64 v[0:1], 3, v[0:1]
	s_waitcnt vmcnt(0)
	global_store_short v[4:5], v6, off
	v_mov_b32_e32 v4, s15
	v_add_co_u32_e32 v0, vcc, s14, v0
	v_addc_co_u32_e32 v1, vcc, v4, v1, vcc
	s_mov_b64 s[4:5], -1
.LBB16_24:
	s_and_b64 exec, exec, s[4:5]
	s_cbranch_execz .LBB16_26
; %bb.25:
	s_waitcnt vmcnt(1)
	global_store_dwordx2 v[0:1], v[2:3], off
.LBB16_26:
	s_endpgm
	.section	.rodata,"a",@progbits
	.p2align	6, 0x0
	.amdhsa_kernel _ZN7rocprim17ROCPRIM_304000_NS6detail33device_block_merge_oddeven_kernelINS1_37wrapped_merge_sort_block_merge_configINS0_14default_configE12hip_bfloat16N2at4cuda3cub6detail10OpaqueTypeILi8EEEEEPS5_SD_PSB_SE_jNS1_19radix_merge_compareILb0ELb0ES5_NS0_19identity_decomposerEEEEEvT0_T1_T2_T3_T4_SM_T5_
		.amdhsa_group_segment_fixed_size 0
		.amdhsa_private_segment_fixed_size 0
		.amdhsa_kernarg_size 44
		.amdhsa_user_sgpr_count 6
		.amdhsa_user_sgpr_private_segment_buffer 1
		.amdhsa_user_sgpr_dispatch_ptr 0
		.amdhsa_user_sgpr_queue_ptr 0
		.amdhsa_user_sgpr_kernarg_segment_ptr 1
		.amdhsa_user_sgpr_dispatch_id 0
		.amdhsa_user_sgpr_flat_scratch_init 0
		.amdhsa_user_sgpr_kernarg_preload_length 0
		.amdhsa_user_sgpr_kernarg_preload_offset 0
		.amdhsa_user_sgpr_private_segment_size 0
		.amdhsa_uses_dynamic_stack 0
		.amdhsa_system_sgpr_private_segment_wavefront_offset 0
		.amdhsa_system_sgpr_workgroup_id_x 1
		.amdhsa_system_sgpr_workgroup_id_y 0
		.amdhsa_system_sgpr_workgroup_id_z 0
		.amdhsa_system_sgpr_workgroup_info 0
		.amdhsa_system_vgpr_workitem_id 0
		.amdhsa_next_free_vgpr 12
		.amdhsa_next_free_sgpr 23
		.amdhsa_accum_offset 12
		.amdhsa_reserve_vcc 1
		.amdhsa_reserve_flat_scratch 0
		.amdhsa_float_round_mode_32 0
		.amdhsa_float_round_mode_16_64 0
		.amdhsa_float_denorm_mode_32 3
		.amdhsa_float_denorm_mode_16_64 3
		.amdhsa_dx10_clamp 1
		.amdhsa_ieee_mode 1
		.amdhsa_fp16_overflow 0
		.amdhsa_tg_split 0
		.amdhsa_exception_fp_ieee_invalid_op 0
		.amdhsa_exception_fp_denorm_src 0
		.amdhsa_exception_fp_ieee_div_zero 0
		.amdhsa_exception_fp_ieee_overflow 0
		.amdhsa_exception_fp_ieee_underflow 0
		.amdhsa_exception_fp_ieee_inexact 0
		.amdhsa_exception_int_div_zero 0
	.end_amdhsa_kernel
	.section	.text._ZN7rocprim17ROCPRIM_304000_NS6detail33device_block_merge_oddeven_kernelINS1_37wrapped_merge_sort_block_merge_configINS0_14default_configE12hip_bfloat16N2at4cuda3cub6detail10OpaqueTypeILi8EEEEEPS5_SD_PSB_SE_jNS1_19radix_merge_compareILb0ELb0ES5_NS0_19identity_decomposerEEEEEvT0_T1_T2_T3_T4_SM_T5_,"axG",@progbits,_ZN7rocprim17ROCPRIM_304000_NS6detail33device_block_merge_oddeven_kernelINS1_37wrapped_merge_sort_block_merge_configINS0_14default_configE12hip_bfloat16N2at4cuda3cub6detail10OpaqueTypeILi8EEEEEPS5_SD_PSB_SE_jNS1_19radix_merge_compareILb0ELb0ES5_NS0_19identity_decomposerEEEEEvT0_T1_T2_T3_T4_SM_T5_,comdat
.Lfunc_end16:
	.size	_ZN7rocprim17ROCPRIM_304000_NS6detail33device_block_merge_oddeven_kernelINS1_37wrapped_merge_sort_block_merge_configINS0_14default_configE12hip_bfloat16N2at4cuda3cub6detail10OpaqueTypeILi8EEEEEPS5_SD_PSB_SE_jNS1_19radix_merge_compareILb0ELb0ES5_NS0_19identity_decomposerEEEEEvT0_T1_T2_T3_T4_SM_T5_, .Lfunc_end16-_ZN7rocprim17ROCPRIM_304000_NS6detail33device_block_merge_oddeven_kernelINS1_37wrapped_merge_sort_block_merge_configINS0_14default_configE12hip_bfloat16N2at4cuda3cub6detail10OpaqueTypeILi8EEEEEPS5_SD_PSB_SE_jNS1_19radix_merge_compareILb0ELb0ES5_NS0_19identity_decomposerEEEEEvT0_T1_T2_T3_T4_SM_T5_
                                        ; -- End function
	.section	.AMDGPU.csdata,"",@progbits
; Kernel info:
; codeLenInByte = 928
; NumSgprs: 27
; NumVgprs: 12
; NumAgprs: 0
; TotalNumVgprs: 12
; ScratchSize: 0
; MemoryBound: 0
; FloatMode: 240
; IeeeMode: 1
; LDSByteSize: 0 bytes/workgroup (compile time only)
; SGPRBlocks: 3
; VGPRBlocks: 1
; NumSGPRsForWavesPerEU: 27
; NumVGPRsForWavesPerEU: 12
; AccumOffset: 12
; Occupancy: 8
; WaveLimiterHint : 0
; COMPUTE_PGM_RSRC2:SCRATCH_EN: 0
; COMPUTE_PGM_RSRC2:USER_SGPR: 6
; COMPUTE_PGM_RSRC2:TRAP_HANDLER: 0
; COMPUTE_PGM_RSRC2:TGID_X_EN: 1
; COMPUTE_PGM_RSRC2:TGID_Y_EN: 0
; COMPUTE_PGM_RSRC2:TGID_Z_EN: 0
; COMPUTE_PGM_RSRC2:TIDIG_COMP_CNT: 0
; COMPUTE_PGM_RSRC3_GFX90A:ACCUM_OFFSET: 2
; COMPUTE_PGM_RSRC3_GFX90A:TG_SPLIT: 0
	.section	.text._ZN7rocprim17ROCPRIM_304000_NS6detail26onesweep_histograms_kernelINS1_34wrapped_radix_sort_onesweep_configINS0_14default_configE12hip_bfloat16N2at4cuda3cub6detail10OpaqueTypeILi8EEEEELb0EPKS5_mNS0_19identity_decomposerEEEvT1_PT2_SH_SH_T3_jj,"axG",@progbits,_ZN7rocprim17ROCPRIM_304000_NS6detail26onesweep_histograms_kernelINS1_34wrapped_radix_sort_onesweep_configINS0_14default_configE12hip_bfloat16N2at4cuda3cub6detail10OpaqueTypeILi8EEEEELb0EPKS5_mNS0_19identity_decomposerEEEvT1_PT2_SH_SH_T3_jj,comdat
	.protected	_ZN7rocprim17ROCPRIM_304000_NS6detail26onesweep_histograms_kernelINS1_34wrapped_radix_sort_onesweep_configINS0_14default_configE12hip_bfloat16N2at4cuda3cub6detail10OpaqueTypeILi8EEEEELb0EPKS5_mNS0_19identity_decomposerEEEvT1_PT2_SH_SH_T3_jj ; -- Begin function _ZN7rocprim17ROCPRIM_304000_NS6detail26onesweep_histograms_kernelINS1_34wrapped_radix_sort_onesweep_configINS0_14default_configE12hip_bfloat16N2at4cuda3cub6detail10OpaqueTypeILi8EEEEELb0EPKS5_mNS0_19identity_decomposerEEEvT1_PT2_SH_SH_T3_jj
	.globl	_ZN7rocprim17ROCPRIM_304000_NS6detail26onesweep_histograms_kernelINS1_34wrapped_radix_sort_onesweep_configINS0_14default_configE12hip_bfloat16N2at4cuda3cub6detail10OpaqueTypeILi8EEEEELb0EPKS5_mNS0_19identity_decomposerEEEvT1_PT2_SH_SH_T3_jj
	.p2align	8
	.type	_ZN7rocprim17ROCPRIM_304000_NS6detail26onesweep_histograms_kernelINS1_34wrapped_radix_sort_onesweep_configINS0_14default_configE12hip_bfloat16N2at4cuda3cub6detail10OpaqueTypeILi8EEEEELb0EPKS5_mNS0_19identity_decomposerEEEvT1_PT2_SH_SH_T3_jj,@function
_ZN7rocprim17ROCPRIM_304000_NS6detail26onesweep_histograms_kernelINS1_34wrapped_radix_sort_onesweep_configINS0_14default_configE12hip_bfloat16N2at4cuda3cub6detail10OpaqueTypeILi8EEEEELb0EPKS5_mNS0_19identity_decomposerEEEvT1_PT2_SH_SH_T3_jj: ; @_ZN7rocprim17ROCPRIM_304000_NS6detail26onesweep_histograms_kernelINS1_34wrapped_radix_sort_onesweep_configINS0_14default_configE12hip_bfloat16N2at4cuda3cub6detail10OpaqueTypeILi8EEEEELb0EPKS5_mNS0_19identity_decomposerEEEvT1_PT2_SH_SH_T3_jj
; %bb.0:
	s_load_dwordx8 s[24:31], s[4:5], 0x0
	s_load_dwordx2 s[34:35], s[4:5], 0x24
	s_mov_b32 s7, 0
	s_mul_i32 s1, s6, 0x1800
	s_mul_hi_u32 s0, s6, 0x1800
	s_waitcnt lgkmcnt(0)
	v_pk_mov_b32 v[2:3], s[30:31], s[30:31] op_sel:[0,1]
	v_cmp_ge_u64_e32 vcc, s[6:7], v[2:3]
	s_add_u32 s24, s24, s1
	s_addc_u32 s25, s25, s0
	s_mov_b64 s[0:1], -1
	v_lshlrev_b32_e32 v1, 1, v0
	s_cbranch_vccz .LBB17_86
; %bb.1:
	s_mul_i32 s0, s30, 0xfffff400
	s_add_i32 s28, s0, s28
	v_mov_b32_e32 v3, s25
	v_add_co_u32_e32 v2, vcc, s24, v1
	v_addc_co_u32_e32 v3, vcc, 0, v3, vcc
	v_cmp_gt_u32_e64 s[22:23], s28, v0
                                        ; implicit-def: $vgpr15
	s_and_saveexec_b64 s[0:1], s[22:23]
	s_cbranch_execz .LBB17_3
; %bb.2:
	global_load_ushort v15, v[2:3], off
.LBB17_3:
	s_or_b64 exec, exec, s[0:1]
	v_or_b32_e32 v4, 0x100, v0
	v_cmp_gt_u32_e64 s[20:21], s28, v4
                                        ; implicit-def: $vgpr14
	s_and_saveexec_b64 s[0:1], s[20:21]
	s_cbranch_execz .LBB17_5
; %bb.4:
	global_load_ushort v14, v[2:3], off offset:512
.LBB17_5:
	s_or_b64 exec, exec, s[0:1]
	v_or_b32_e32 v4, 0x200, v0
	v_cmp_gt_u32_e64 s[18:19], s28, v4
                                        ; implicit-def: $vgpr13
	s_and_saveexec_b64 s[0:1], s[18:19]
	s_cbranch_execz .LBB17_7
; %bb.6:
	global_load_ushort v13, v[2:3], off offset:1024
.LBB17_7:
	s_or_b64 exec, exec, s[0:1]
	v_or_b32_e32 v4, 0x300, v0
	v_cmp_gt_u32_e64 s[16:17], s28, v4
                                        ; implicit-def: $vgpr12
	s_and_saveexec_b64 s[0:1], s[16:17]
	s_cbranch_execz .LBB17_9
; %bb.8:
	global_load_ushort v12, v[2:3], off offset:1536
.LBB17_9:
	s_or_b64 exec, exec, s[0:1]
	v_or_b32_e32 v4, 0x400, v0
	v_cmp_gt_u32_e64 s[14:15], s28, v4
                                        ; implicit-def: $vgpr11
	s_and_saveexec_b64 s[0:1], s[14:15]
	s_cbranch_execz .LBB17_11
; %bb.10:
	global_load_ushort v11, v[2:3], off offset:2048
.LBB17_11:
	s_or_b64 exec, exec, s[0:1]
	v_or_b32_e32 v4, 0x500, v0
	v_cmp_gt_u32_e64 s[12:13], s28, v4
                                        ; implicit-def: $vgpr10
	s_and_saveexec_b64 s[0:1], s[12:13]
	s_cbranch_execz .LBB17_13
; %bb.12:
	global_load_ushort v10, v[2:3], off offset:2560
.LBB17_13:
	s_or_b64 exec, exec, s[0:1]
	v_or_b32_e32 v4, 0x600, v0
	v_cmp_gt_u32_e64 s[10:11], s28, v4
                                        ; implicit-def: $vgpr9
	s_and_saveexec_b64 s[0:1], s[10:11]
	s_cbranch_execz .LBB17_15
; %bb.14:
	global_load_ushort v9, v[2:3], off offset:3072
.LBB17_15:
	s_or_b64 exec, exec, s[0:1]
	v_or_b32_e32 v4, 0x700, v0
	v_cmp_gt_u32_e64 s[8:9], s28, v4
                                        ; implicit-def: $vgpr8
	s_and_saveexec_b64 s[0:1], s[8:9]
	s_cbranch_execz .LBB17_17
; %bb.16:
	global_load_ushort v8, v[2:3], off offset:3584
.LBB17_17:
	s_or_b64 exec, exec, s[0:1]
	v_or_b32_e32 v4, 0x800, v0
	v_cmp_gt_u32_e64 s[6:7], s28, v4
                                        ; implicit-def: $vgpr7
	s_and_saveexec_b64 s[0:1], s[6:7]
	s_cbranch_execz .LBB17_19
; %bb.18:
	v_add_co_u32_e32 v4, vcc, 0x1000, v2
	v_addc_co_u32_e32 v5, vcc, 0, v3, vcc
	global_load_ushort v7, v[4:5], off
.LBB17_19:
	s_or_b64 exec, exec, s[0:1]
	v_or_b32_e32 v4, 0x900, v0
	v_cmp_gt_u32_e64 s[4:5], s28, v4
                                        ; implicit-def: $vgpr6
	s_and_saveexec_b64 s[0:1], s[4:5]
	s_cbranch_execz .LBB17_21
; %bb.20:
	v_add_co_u32_e32 v4, vcc, 0x1000, v2
	v_addc_co_u32_e32 v5, vcc, 0, v3, vcc
	global_load_ushort v6, v[4:5], off offset:512
.LBB17_21:
	s_or_b64 exec, exec, s[0:1]
	v_or_b32_e32 v4, 0xa00, v0
	v_cmp_gt_u32_e64 s[2:3], s28, v4
                                        ; implicit-def: $vgpr5
	s_and_saveexec_b64 s[0:1], s[2:3]
	s_cbranch_execz .LBB17_23
; %bb.22:
	v_add_co_u32_e32 v4, vcc, 0x1000, v2
	v_addc_co_u32_e32 v5, vcc, 0, v3, vcc
	global_load_ushort v5, v[4:5], off offset:1024
.LBB17_23:
	s_or_b64 exec, exec, s[0:1]
	v_or_b32_e32 v4, 0xb00, v0
	v_cmp_gt_u32_e64 s[0:1], s28, v4
                                        ; implicit-def: $vgpr4
	s_and_saveexec_b64 s[28:29], s[0:1]
	s_cbranch_execz .LBB17_25
; %bb.24:
	v_add_co_u32_e32 v2, vcc, 0x1000, v2
	v_addc_co_u32_e32 v3, vcc, 0, v3, vcc
	global_load_ushort v4, v[2:3], off offset:1536
.LBB17_25:
	s_or_b64 exec, exec, s[28:29]
	v_lshlrev_b32_e32 v2, 2, v0
	s_mov_b32 s33, 0
	s_mov_b64 s[28:29], 0
	v_mov_b32_e32 v3, 0
	s_branch .LBB17_27
.LBB17_26:                              ;   in Loop: Header=BB17_27 Depth=1
	s_or_b64 exec, exec, s[36:37]
	s_add_i32 s33, s33, 2
	v_cmp_eq_u32_e64 s[30:31], 8, s33
	s_or_b64 s[28:29], s[30:31], s[28:29]
	v_add_u32_e32 v2, 0x800, v2
	s_andn2_b64 exec, exec, s[28:29]
	s_cbranch_execz .LBB17_31
.LBB17_27:                              ; =>This Inner Loop Header: Depth=1
	s_or_b32 s30, s33, 1
	v_cmp_le_u32_e64 s[30:31], s30, 7
	v_cmp_le_u32_e64 s[38:39], s33, 7
	s_and_saveexec_b64 s[36:37], s[38:39]
	s_cbranch_execz .LBB17_29
; %bb.28:                               ;   in Loop: Header=BB17_27 Depth=1
	ds_write_b32 v2, v3
.LBB17_29:                              ;   in Loop: Header=BB17_27 Depth=1
	s_or_b64 exec, exec, s[36:37]
	s_and_saveexec_b64 s[36:37], s[30:31]
	s_cbranch_execz .LBB17_26
; %bb.30:                               ;   in Loop: Header=BB17_27 Depth=1
	ds_write_b32 v2, v3 offset:1024
	s_branch .LBB17_26
.LBB17_31:
	s_or_b64 exec, exec, s[28:29]
	s_cmp_gt_u32 s35, s34
	s_cselect_b64 s[28:29], -1, 0
	s_cmp_le_u32 s35, s34
	s_waitcnt lgkmcnt(0)
	s_barrier
	s_cbranch_scc1 .LBB17_80
; %bb.32:
	v_mov_b32_e32 v3, 0xffff8000
	s_waitcnt vmcnt(0)
	v_cmp_lt_i16_e32 vcc, -1, v15
	v_cndmask_b32_e32 v16, -1, v3, vcc
	v_and_b32_e32 v2, 3, v0
	v_xor_b32_e32 v15, v16, v15
	s_movk_i32 s30, 0x7fff
	v_cmp_ne_u16_e32 vcc, s30, v15
	v_lshlrev_b32_e32 v2, 2, v2
	s_sub_i32 s33, s35, s34
	v_cndmask_b32_e32 v3, v3, v15, vcc
	v_mov_b32_e32 v15, 1
	s_mov_b32 s36, s33
	v_mov_b32_e32 v16, v2
	s_mov_b32 s37, s34
	s_branch .LBB17_34
.LBB17_33:                              ;   in Loop: Header=BB17_34 Depth=1
	s_or_b64 exec, exec, s[30:31]
	s_add_i32 s37, s37, 8
	s_add_i32 s36, s36, -8
	s_cmp_ge_u32 s37, s35
	v_add_u32_e32 v16, 0x1000, v16
	s_cbranch_scc1 .LBB17_36
.LBB17_34:                              ; =>This Inner Loop Header: Depth=1
	s_and_saveexec_b64 s[30:31], s[22:23]
	s_cbranch_execz .LBB17_33
; %bb.35:                               ;   in Loop: Header=BB17_34 Depth=1
	s_min_u32 s38, s36, 8
	v_lshrrev_b32_sdwa v17, s37, v3 dst_sel:DWORD dst_unused:UNUSED_PAD src0_sel:DWORD src1_sel:WORD_0
	v_bfe_u32 v17, v17, 0, s38
	v_lshl_add_u32 v17, v17, 4, v16
	ds_add_u32 v17, v15
	s_branch .LBB17_33
.LBB17_36:
	v_mov_b32_e32 v3, 0xffff8000
	v_cmp_lt_i16_e32 vcc, -1, v14
	v_cndmask_b32_e32 v15, -1, v3, vcc
	v_xor_b32_e32 v14, v15, v14
	s_movk_i32 s22, 0x7fff
	v_cmp_ne_u16_e32 vcc, s22, v14
	v_cndmask_b32_e32 v3, v3, v14, vcc
	v_mov_b32_e32 v14, 1
	s_mov_b32 s30, s33
	v_mov_b32_e32 v15, v2
	s_mov_b32 s31, s34
	s_branch .LBB17_38
.LBB17_37:                              ;   in Loop: Header=BB17_38 Depth=1
	s_or_b64 exec, exec, s[22:23]
	s_add_i32 s31, s31, 8
	s_add_i32 s30, s30, -8
	s_cmp_lt_u32 s31, s35
	v_add_u32_e32 v15, 0x1000, v15
	s_cbranch_scc0 .LBB17_40
.LBB17_38:                              ; =>This Inner Loop Header: Depth=1
	s_and_saveexec_b64 s[22:23], s[20:21]
	s_cbranch_execz .LBB17_37
; %bb.39:                               ;   in Loop: Header=BB17_38 Depth=1
	s_min_u32 s36, s30, 8
	v_lshrrev_b32_sdwa v16, s31, v3 dst_sel:DWORD dst_unused:UNUSED_PAD src0_sel:DWORD src1_sel:WORD_0
	v_bfe_u32 v16, v16, 0, s36
	v_lshl_add_u32 v16, v16, 4, v15
	ds_add_u32 v16, v14
	s_branch .LBB17_37
.LBB17_40:
	v_mov_b32_e32 v3, 0xffff8000
	v_cmp_lt_i16_e32 vcc, -1, v13
	v_cndmask_b32_e32 v14, -1, v3, vcc
	v_xor_b32_e32 v13, v14, v13
	s_movk_i32 s20, 0x7fff
	v_cmp_ne_u16_e32 vcc, s20, v13
	v_cndmask_b32_e32 v3, v3, v13, vcc
	v_mov_b32_e32 v13, 1
	s_mov_b32 s22, s33
	v_mov_b32_e32 v14, v2
	s_mov_b32 s23, s34
	s_branch .LBB17_42
.LBB17_41:                              ;   in Loop: Header=BB17_42 Depth=1
	s_or_b64 exec, exec, s[20:21]
	s_add_i32 s23, s23, 8
	s_add_i32 s22, s22, -8
	s_cmp_lt_u32 s23, s35
	v_add_u32_e32 v14, 0x1000, v14
	s_cbranch_scc0 .LBB17_44
.LBB17_42:                              ; =>This Inner Loop Header: Depth=1
	s_and_saveexec_b64 s[20:21], s[18:19]
	s_cbranch_execz .LBB17_41
; %bb.43:                               ;   in Loop: Header=BB17_42 Depth=1
	s_min_u32 s30, s22, 8
	v_lshrrev_b32_sdwa v15, s23, v3 dst_sel:DWORD dst_unused:UNUSED_PAD src0_sel:DWORD src1_sel:WORD_0
	v_bfe_u32 v15, v15, 0, s30
	v_lshl_add_u32 v15, v15, 4, v14
	ds_add_u32 v15, v13
	s_branch .LBB17_41
.LBB17_44:
	;; [unrolled: 30-line block ×10, first 2 shown]
	v_mov_b32_e32 v3, 0xffff8000
	v_cmp_lt_i16_e32 vcc, -1, v4
	v_cndmask_b32_e32 v5, -1, v3, vcc
	v_xor_b32_e32 v4, v5, v4
	s_movk_i32 s2, 0x7fff
	v_cmp_ne_u16_e32 vcc, s2, v4
	v_cndmask_b32_e32 v3, v3, v4, vcc
	v_mov_b32_e32 v4, 1
	s_mov_b32 s4, s34
	s_branch .LBB17_78
.LBB17_77:                              ;   in Loop: Header=BB17_78 Depth=1
	s_or_b64 exec, exec, s[2:3]
	s_add_i32 s4, s4, 8
	s_add_i32 s33, s33, -8
	s_cmp_lt_u32 s4, s35
	v_add_u32_e32 v2, 0x1000, v2
	s_cbranch_scc0 .LBB17_80
.LBB17_78:                              ; =>This Inner Loop Header: Depth=1
	s_and_saveexec_b64 s[2:3], s[0:1]
	s_cbranch_execz .LBB17_77
; %bb.79:                               ;   in Loop: Header=BB17_78 Depth=1
	s_min_u32 s5, s33, 8
	v_lshrrev_b32_sdwa v5, s4, v3 dst_sel:DWORD dst_unused:UNUSED_PAD src0_sel:DWORD src1_sel:WORD_0
	v_bfe_u32 v5, v5, 0, s5
	v_lshl_add_u32 v5, v5, 4, v2
	ds_add_u32 v5, v4
	s_branch .LBB17_77
.LBB17_80:
	s_and_b64 vcc, exec, s[28:29]
	s_waitcnt lgkmcnt(0)
	s_barrier
	s_cbranch_vccz .LBB17_85
; %bb.81:
	s_movk_i32 s0, 0x100
	v_cmp_gt_u32_e32 vcc, s0, v0
	s_waitcnt vmcnt(0)
	v_lshlrev_b32_e32 v4, 4, v0
	v_mov_b32_e32 v3, 0
	v_mov_b32_e32 v2, v0
	s_mov_b32 s4, s34
	s_branch .LBB17_83
.LBB17_82:                              ;   in Loop: Header=BB17_83 Depth=1
	s_or_b64 exec, exec, s[2:3]
	s_add_i32 s4, s4, 8
	v_add_u32_e32 v2, 0x100, v2
	s_cmp_lt_u32 s4, s35
	v_add_u32_e32 v4, 0x1000, v4
	s_cbranch_scc0 .LBB17_85
.LBB17_83:                              ; =>This Inner Loop Header: Depth=1
	s_and_saveexec_b64 s[2:3], vcc
	s_cbranch_execz .LBB17_82
; %bb.84:                               ;   in Loop: Header=BB17_83 Depth=1
	ds_read2_b32 v[6:7], v4 offset1:1
	ds_read2_b32 v[8:9], v4 offset0:2 offset1:3
	v_lshlrev_b64 v[10:11], 3, v[2:3]
	v_mov_b32_e32 v5, s27
	s_waitcnt lgkmcnt(1)
	v_add_u32_e32 v6, v7, v6
	s_waitcnt lgkmcnt(0)
	v_add3_u32 v6, v6, v8, v9
	v_add_co_u32_e64 v8, s[0:1], s26, v10
	v_addc_co_u32_e64 v9, s[0:1], v5, v11, s[0:1]
	v_mov_b32_e32 v7, v3
	global_atomic_add_x2 v[8:9], v[6:7], off
	s_branch .LBB17_82
.LBB17_85:
	s_mov_b64 s[0:1], 0
.LBB17_86:
	s_and_b64 vcc, exec, s[0:1]
	s_cbranch_vccz .LBB17_134
; %bb.87:
	v_mov_b32_e32 v2, s25
	v_add_co_u32_e32 v3, vcc, s24, v1
	s_waitcnt vmcnt(0)
	v_addc_co_u32_e32 v4, vcc, 0, v2, vcc
	global_load_ushort v14, v1, s[24:25] offset:512
	global_load_ushort v13, v1, s[24:25] offset:1024
	;; [unrolled: 1-line block ×7, first 2 shown]
	v_add_co_u32_e32 v2, vcc, 0x1000, v3
	v_addc_co_u32_e32 v3, vcc, 0, v4, vcc
	global_load_ushort v9, v[2:3], off
	global_load_ushort v7, v[2:3], off offset:512
	global_load_ushort v5, v[2:3], off offset:1024
	global_load_ushort v15, v1, s[24:25]
	global_load_ushort v4, v[2:3], off offset:1536
	s_cmp_eq_u32 s34, 0
	s_cselect_b64 s[0:1], -1, 0
	s_cmp_eq_u32 s35, 16
	s_cselect_b64 s[2:3], -1, 0
	s_and_b64 s[2:3], s[0:1], s[2:3]
	s_mov_b32 s6, 0
	s_mov_b64 s[0:1], -1
	s_and_b64 vcc, exec, s[2:3]
	v_lshlrev_b32_e32 v1, 2, v0
	s_cbranch_vccnz .LBB17_125
; %bb.88:
	v_lshlrev_b32_e32 v2, 2, v0
	s_mov_b64 s[0:1], 0
	v_mov_b32_e32 v3, 0
	s_branch .LBB17_90
.LBB17_89:                              ;   in Loop: Header=BB17_90 Depth=1
	s_or_b64 exec, exec, s[4:5]
	s_add_i32 s6, s6, 2
	v_cmp_eq_u32_e64 s[2:3], 8, s6
	s_or_b64 s[0:1], s[2:3], s[0:1]
	v_add_u32_e32 v2, 0x800, v2
	s_andn2_b64 exec, exec, s[0:1]
	s_cbranch_execz .LBB17_94
.LBB17_90:                              ; =>This Inner Loop Header: Depth=1
	s_or_b32 s2, s6, 1
	v_cmp_le_u32_e64 s[2:3], s2, 7
	v_cmp_le_u32_e64 s[8:9], s6, 7
	s_and_saveexec_b64 s[4:5], s[8:9]
	s_cbranch_execz .LBB17_92
; %bb.91:                               ;   in Loop: Header=BB17_90 Depth=1
	ds_write_b32 v2, v3
.LBB17_92:                              ;   in Loop: Header=BB17_90 Depth=1
	s_or_b64 exec, exec, s[4:5]
	s_and_saveexec_b64 s[4:5], s[2:3]
	s_cbranch_execz .LBB17_89
; %bb.93:                               ;   in Loop: Header=BB17_90 Depth=1
	ds_write_b32 v2, v3 offset:1024
	s_branch .LBB17_89
.LBB17_94:
	s_or_b64 exec, exec, s[0:1]
	s_cmp_gt_u32 s35, s34
	s_cselect_b64 s[0:1], -1, 0
	s_cmp_le_u32 s35, s34
	s_waitcnt lgkmcnt(0)
	s_barrier
	s_cbranch_scc1 .LBB17_119
; %bb.95:
	v_mov_b32_e32 v3, 0xffff8000
	s_waitcnt vmcnt(1)
	v_cmp_lt_i16_e32 vcc, -1, v15
	v_cndmask_b32_e32 v16, -1, v3, vcc
	v_and_b32_e32 v2, 3, v0
	v_xor_b32_e32 v16, v16, v15
	s_movk_i32 s2, 0x7fff
	v_cmp_ne_u16_e32 vcc, s2, v16
	v_lshlrev_b32_e32 v2, 2, v2
	s_sub_i32 s2, s35, s34
	v_cndmask_b32_e32 v3, v3, v16, vcc
	v_mov_b32_e32 v16, 1
	s_mov_b32 s3, s2
	v_mov_b32_e32 v17, v2
	s_mov_b32 s4, s34
.LBB17_96:                              ; =>This Inner Loop Header: Depth=1
	s_min_u32 s5, s3, 8
	v_lshrrev_b32_sdwa v18, s4, v3 dst_sel:DWORD dst_unused:UNUSED_PAD src0_sel:DWORD src1_sel:WORD_0
	v_bfe_u32 v18, v18, 0, s5
	v_lshl_add_u32 v18, v18, 4, v17
	ds_add_u32 v18, v16
	s_add_i32 s4, s4, 8
	s_add_i32 s3, s3, -8
	s_cmp_ge_u32 s4, s35
	v_add_u32_e32 v17, 0x1000, v17
	s_cbranch_scc0 .LBB17_96
; %bb.97:
	v_mov_b32_e32 v3, 0xffff8000
	v_cmp_lt_i16_e32 vcc, -1, v14
	v_cndmask_b32_e32 v16, -1, v3, vcc
	v_xor_b32_e32 v16, v16, v14
	s_movk_i32 s3, 0x7fff
	v_cmp_ne_u16_e32 vcc, s3, v16
	v_cndmask_b32_e32 v3, v3, v16, vcc
	v_mov_b32_e32 v16, 1
	s_mov_b32 s3, s2
	v_mov_b32_e32 v17, v2
	s_mov_b32 s4, s34
.LBB17_98:                              ; =>This Inner Loop Header: Depth=1
	s_min_u32 s5, s3, 8
	v_lshrrev_b32_sdwa v18, s4, v3 dst_sel:DWORD dst_unused:UNUSED_PAD src0_sel:DWORD src1_sel:WORD_0
	v_bfe_u32 v18, v18, 0, s5
	v_lshl_add_u32 v18, v18, 4, v17
	ds_add_u32 v18, v16
	s_add_i32 s4, s4, 8
	s_add_i32 s3, s3, -8
	s_cmp_lt_u32 s4, s35
	v_add_u32_e32 v17, 0x1000, v17
	s_cbranch_scc1 .LBB17_98
; %bb.99:
	v_mov_b32_e32 v3, 0xffff8000
	v_cmp_lt_i16_e32 vcc, -1, v13
	v_cndmask_b32_e32 v16, -1, v3, vcc
	v_xor_b32_e32 v16, v16, v13
	s_movk_i32 s3, 0x7fff
	v_cmp_ne_u16_e32 vcc, s3, v16
	v_cndmask_b32_e32 v3, v3, v16, vcc
	v_mov_b32_e32 v16, 1
	s_mov_b32 s3, s2
	v_mov_b32_e32 v17, v2
	s_mov_b32 s4, s34
.LBB17_100:                             ; =>This Inner Loop Header: Depth=1
	s_min_u32 s5, s3, 8
	v_lshrrev_b32_sdwa v18, s4, v3 dst_sel:DWORD dst_unused:UNUSED_PAD src0_sel:DWORD src1_sel:WORD_0
	v_bfe_u32 v18, v18, 0, s5
	v_lshl_add_u32 v18, v18, 4, v17
	ds_add_u32 v18, v16
	s_add_i32 s4, s4, 8
	s_add_i32 s3, s3, -8
	s_cmp_lt_u32 s4, s35
	v_add_u32_e32 v17, 0x1000, v17
	s_cbranch_scc1 .LBB17_100
; %bb.101:
	v_mov_b32_e32 v3, 0xffff8000
	v_cmp_lt_i16_e32 vcc, -1, v12
	v_cndmask_b32_e32 v16, -1, v3, vcc
	v_xor_b32_e32 v16, v16, v12
	s_movk_i32 s3, 0x7fff
	v_cmp_ne_u16_e32 vcc, s3, v16
	v_cndmask_b32_e32 v3, v3, v16, vcc
	v_mov_b32_e32 v16, 1
	s_mov_b32 s3, s2
	v_mov_b32_e32 v17, v2
	s_mov_b32 s4, s34
.LBB17_102:                             ; =>This Inner Loop Header: Depth=1
	s_min_u32 s5, s3, 8
	v_lshrrev_b32_sdwa v18, s4, v3 dst_sel:DWORD dst_unused:UNUSED_PAD src0_sel:DWORD src1_sel:WORD_0
	v_bfe_u32 v18, v18, 0, s5
	v_lshl_add_u32 v18, v18, 4, v17
	ds_add_u32 v18, v16
	s_add_i32 s4, s4, 8
	s_add_i32 s3, s3, -8
	s_cmp_lt_u32 s4, s35
	v_add_u32_e32 v17, 0x1000, v17
	s_cbranch_scc1 .LBB17_102
	;; [unrolled: 23-line block ×9, first 2 shown]
; %bb.117:
	v_mov_b32_e32 v3, 0xffff8000
	s_waitcnt vmcnt(0)
	v_cmp_lt_i16_e32 vcc, -1, v4
	v_cndmask_b32_e32 v16, -1, v3, vcc
	v_xor_b32_e32 v16, v16, v4
	s_movk_i32 s3, 0x7fff
	v_cmp_ne_u16_e32 vcc, s3, v16
	v_cndmask_b32_e32 v3, v3, v16, vcc
	v_mov_b32_e32 v16, 1
	s_mov_b32 s3, s34
.LBB17_118:                             ; =>This Inner Loop Header: Depth=1
	s_min_u32 s4, s2, 8
	v_lshrrev_b32_sdwa v17, s3, v3 dst_sel:DWORD dst_unused:UNUSED_PAD src0_sel:DWORD src1_sel:WORD_0
	v_bfe_u32 v17, v17, 0, s4
	v_lshl_add_u32 v17, v17, 4, v2
	ds_add_u32 v17, v16
	s_add_i32 s3, s3, 8
	s_add_i32 s2, s2, -8
	s_cmp_lt_u32 s3, s35
	v_add_u32_e32 v2, 0x1000, v2
	s_cbranch_scc1 .LBB17_118
.LBB17_119:
	s_and_b64 vcc, exec, s[0:1]
	s_waitcnt lgkmcnt(0)
	s_barrier
	s_cbranch_vccz .LBB17_124
; %bb.120:
	s_movk_i32 s0, 0x100
	v_cmp_gt_u32_e32 vcc, s0, v0
	v_lshlrev_b32_e32 v16, 4, v0
	v_mov_b32_e32 v3, 0
	v_mov_b32_e32 v2, v0
	s_branch .LBB17_122
.LBB17_121:                             ;   in Loop: Header=BB17_122 Depth=1
	s_or_b64 exec, exec, s[2:3]
	s_add_i32 s34, s34, 8
	v_add_u32_e32 v2, 0x100, v2
	s_cmp_ge_u32 s34, s35
	v_add_u32_e32 v16, 0x1000, v16
	s_cbranch_scc1 .LBB17_124
.LBB17_122:                             ; =>This Inner Loop Header: Depth=1
	s_and_saveexec_b64 s[2:3], vcc
	s_cbranch_execz .LBB17_121
; %bb.123:                              ;   in Loop: Header=BB17_122 Depth=1
	ds_read2_b32 v[18:19], v16 offset1:1
	ds_read2_b32 v[20:21], v16 offset0:2 offset1:3
	v_lshlrev_b64 v[22:23], 3, v[2:3]
	v_mov_b32_e32 v17, s27
	s_waitcnt lgkmcnt(1)
	v_add_u32_e32 v18, v19, v18
	s_waitcnt lgkmcnt(0)
	v_add3_u32 v18, v18, v20, v21
	v_add_co_u32_e64 v20, s[0:1], s26, v22
	v_addc_co_u32_e64 v21, s[0:1], v17, v23, s[0:1]
	v_mov_b32_e32 v19, v3
	global_atomic_add_x2 v[20:21], v[18:19], off
	s_branch .LBB17_121
.LBB17_124:
	s_mov_b64 s[0:1], 0
.LBB17_125:
	s_and_b64 vcc, exec, s[0:1]
	s_cbranch_vccz .LBB17_134
; %bb.126:
	s_mov_b32 s6, 0
	s_mov_b64 s[0:1], 0
	v_mov_b32_e32 v2, 0
	v_mov_b32_e32 v3, v1
	s_branch .LBB17_128
.LBB17_127:                             ;   in Loop: Header=BB17_128 Depth=1
	s_or_b64 exec, exec, s[4:5]
	s_add_i32 s6, s6, 2
	v_cmp_eq_u32_e64 s[2:3], 8, s6
	s_or_b64 s[0:1], s[2:3], s[0:1]
	v_add_u32_e32 v3, 0x800, v3
	s_andn2_b64 exec, exec, s[0:1]
	s_cbranch_execz .LBB17_132
.LBB17_128:                             ; =>This Inner Loop Header: Depth=1
	s_or_b32 s2, s6, 1
	v_cmp_le_u32_e64 s[2:3], s2, 7
	v_cmp_le_u32_e64 s[8:9], s6, 7
	s_and_saveexec_b64 s[4:5], s[8:9]
	s_cbranch_execz .LBB17_130
; %bb.129:                              ;   in Loop: Header=BB17_128 Depth=1
	ds_write_b32 v3, v2
.LBB17_130:                             ;   in Loop: Header=BB17_128 Depth=1
	s_or_b64 exec, exec, s[4:5]
	s_and_saveexec_b64 s[4:5], s[2:3]
	s_cbranch_execz .LBB17_127
; %bb.131:                              ;   in Loop: Header=BB17_128 Depth=1
	ds_write_b32 v3, v2 offset:1024
	s_branch .LBB17_127
.LBB17_132:
	s_or_b64 exec, exec, s[0:1]
	v_mov_b32_e32 v2, 0xffff8000
	s_waitcnt vmcnt(1)
	v_cmp_lt_i16_e32 vcc, -1, v15
	v_cndmask_b32_e32 v3, -1, v2, vcc
	v_cmp_lt_i16_e32 vcc, -1, v14
	v_xor_b32_e32 v3, v3, v15
	v_cndmask_b32_e32 v15, -1, v2, vcc
	v_cmp_lt_i16_e32 vcc, -1, v13
	v_xor_b32_e32 v14, v15, v14
	;; [unrolled: 3-line block ×10, first 2 shown]
	v_cndmask_b32_e32 v15, -1, v2, vcc
	s_waitcnt vmcnt(0)
	v_cmp_lt_i16_e32 vcc, -1, v4
	s_movk_i32 s0, 0x7fff
	v_xor_b32_e32 v5, v15, v5
	v_cndmask_b32_e32 v15, -1, v2, vcc
	v_cmp_ne_u16_e32 vcc, s0, v3
	v_cndmask_b32_e32 v3, v2, v3, vcc
	v_and_b32_e32 v3, 0xffff, v3
	v_xor_b32_e32 v4, v15, v4
	v_and_b32_e32 v15, 3, v0
	v_lshlrev_b32_e32 v16, 2, v3
	s_movk_i32 s1, 0x3fc
	v_and_or_b32 v16, v16, s1, v15
	v_bfe_u32 v3, v3, 8, 8
	v_lshlrev_b32_e32 v16, 2, v16
	v_mov_b32_e32 v17, 1
	v_lshl_or_b32 v3, v3, 2, v15
	s_waitcnt lgkmcnt(0)
	s_barrier
	ds_add_u32 v16, v17
	v_lshlrev_b32_e32 v3, 2, v3
	v_cmp_ne_u16_e32 vcc, s0, v14
	ds_add_u32 v3, v17 offset:4096
	v_cndmask_b32_e32 v3, v2, v14, vcc
	v_and_b32_e32 v3, 0xffff, v3
	v_lshlrev_b32_e32 v14, 2, v3
	v_and_or_b32 v14, v14, s1, v15
	v_bfe_u32 v3, v3, 8, 8
	v_lshlrev_b32_e32 v14, 2, v14
	v_lshl_or_b32 v3, v3, 2, v15
	ds_add_u32 v14, v17
	v_lshlrev_b32_e32 v3, 2, v3
	v_cmp_ne_u16_e32 vcc, s0, v13
	ds_add_u32 v3, v17 offset:4096
	v_cndmask_b32_e32 v3, v2, v13, vcc
	v_and_b32_e32 v3, 0xffff, v3
	v_lshlrev_b32_e32 v13, 2, v3
	v_and_or_b32 v13, v13, s1, v15
	v_bfe_u32 v3, v3, 8, 8
	v_lshlrev_b32_e32 v13, 2, v13
	v_lshl_or_b32 v3, v3, 2, v15
	;; [unrolled: 11-line block ×9, first 2 shown]
	ds_add_u32 v6, v17
	v_lshlrev_b32_e32 v3, 2, v3
	v_cmp_ne_u16_e32 vcc, s0, v5
	ds_add_u32 v3, v17 offset:4096
	v_cndmask_b32_e32 v3, v2, v5, vcc
	v_and_b32_e32 v3, 0xffff, v3
	v_lshlrev_b32_e32 v5, 2, v3
	v_and_or_b32 v5, v5, s1, v15
	v_bfe_u32 v3, v3, 8, 8
	v_cmp_ne_u16_e32 vcc, s0, v4
	v_lshlrev_b32_e32 v5, 2, v5
	v_lshl_or_b32 v3, v3, 2, v15
	v_cndmask_b32_e32 v2, v2, v4, vcc
	ds_add_u32 v5, v17
	v_lshlrev_b32_e32 v3, 2, v3
	v_and_b32_e32 v2, 0xffff, v2
	ds_add_u32 v3, v17 offset:4096
	v_lshlrev_b32_e32 v3, 2, v2
	v_and_or_b32 v3, v3, s1, v15
	v_bfe_u32 v2, v2, 8, 8
	v_lshlrev_b32_e32 v3, 2, v3
	v_lshl_or_b32 v2, v2, 2, v15
	ds_add_u32 v3, v17
	v_lshlrev_b32_e32 v2, 2, v2
	ds_add_u32 v2, v17 offset:4096
	s_movk_i32 s0, 0x100
	v_cmp_gt_u32_e32 vcc, s0, v0
	s_waitcnt lgkmcnt(0)
	s_barrier
	s_and_saveexec_b64 s[0:1], vcc
	s_cbranch_execz .LBB17_134
; %bb.133:
	v_lshlrev_b32_e32 v6, 2, v1
	ds_read2_b32 v[2:3], v6 offset1:1
	ds_read2_b32 v[4:5], v6 offset0:2 offset1:3
	v_lshlrev_b32_e32 v7, 3, v0
	v_mov_b32_e32 v1, 0
	v_or_b32_e32 v8, 0x1000, v6
	s_waitcnt lgkmcnt(1)
	v_add_u32_e32 v0, v3, v2
	s_waitcnt lgkmcnt(0)
	v_add3_u32 v0, v0, v4, v5
	global_atomic_add_x2 v7, v[0:1], s[26:27]
	v_add_u32_e32 v0, 0x1008, v6
	ds_read2_b32 v[2:3], v8 offset1:1
	ds_read2_b32 v[4:5], v0 offset1:1
	s_waitcnt lgkmcnt(1)
	v_add_u32_e32 v0, v3, v2
	s_waitcnt lgkmcnt(0)
	v_add3_u32 v0, v0, v4, v5
	global_atomic_add_x2 v7, v[0:1], s[26:27] offset:2048
.LBB17_134:
	s_endpgm
	.section	.rodata,"a",@progbits
	.p2align	6, 0x0
	.amdhsa_kernel _ZN7rocprim17ROCPRIM_304000_NS6detail26onesweep_histograms_kernelINS1_34wrapped_radix_sort_onesweep_configINS0_14default_configE12hip_bfloat16N2at4cuda3cub6detail10OpaqueTypeILi8EEEEELb0EPKS5_mNS0_19identity_decomposerEEEvT1_PT2_SH_SH_T3_jj
		.amdhsa_group_segment_fixed_size 8192
		.amdhsa_private_segment_fixed_size 0
		.amdhsa_kernarg_size 44
		.amdhsa_user_sgpr_count 6
		.amdhsa_user_sgpr_private_segment_buffer 1
		.amdhsa_user_sgpr_dispatch_ptr 0
		.amdhsa_user_sgpr_queue_ptr 0
		.amdhsa_user_sgpr_kernarg_segment_ptr 1
		.amdhsa_user_sgpr_dispatch_id 0
		.amdhsa_user_sgpr_flat_scratch_init 0
		.amdhsa_user_sgpr_kernarg_preload_length 0
		.amdhsa_user_sgpr_kernarg_preload_offset 0
		.amdhsa_user_sgpr_private_segment_size 0
		.amdhsa_uses_dynamic_stack 0
		.amdhsa_system_sgpr_private_segment_wavefront_offset 0
		.amdhsa_system_sgpr_workgroup_id_x 1
		.amdhsa_system_sgpr_workgroup_id_y 0
		.amdhsa_system_sgpr_workgroup_id_z 0
		.amdhsa_system_sgpr_workgroup_info 0
		.amdhsa_system_vgpr_workitem_id 0
		.amdhsa_next_free_vgpr 24
		.amdhsa_next_free_sgpr 40
		.amdhsa_accum_offset 24
		.amdhsa_reserve_vcc 1
		.amdhsa_reserve_flat_scratch 0
		.amdhsa_float_round_mode_32 0
		.amdhsa_float_round_mode_16_64 0
		.amdhsa_float_denorm_mode_32 3
		.amdhsa_float_denorm_mode_16_64 3
		.amdhsa_dx10_clamp 1
		.amdhsa_ieee_mode 1
		.amdhsa_fp16_overflow 0
		.amdhsa_tg_split 0
		.amdhsa_exception_fp_ieee_invalid_op 0
		.amdhsa_exception_fp_denorm_src 0
		.amdhsa_exception_fp_ieee_div_zero 0
		.amdhsa_exception_fp_ieee_overflow 0
		.amdhsa_exception_fp_ieee_underflow 0
		.amdhsa_exception_fp_ieee_inexact 0
		.amdhsa_exception_int_div_zero 0
	.end_amdhsa_kernel
	.section	.text._ZN7rocprim17ROCPRIM_304000_NS6detail26onesweep_histograms_kernelINS1_34wrapped_radix_sort_onesweep_configINS0_14default_configE12hip_bfloat16N2at4cuda3cub6detail10OpaqueTypeILi8EEEEELb0EPKS5_mNS0_19identity_decomposerEEEvT1_PT2_SH_SH_T3_jj,"axG",@progbits,_ZN7rocprim17ROCPRIM_304000_NS6detail26onesweep_histograms_kernelINS1_34wrapped_radix_sort_onesweep_configINS0_14default_configE12hip_bfloat16N2at4cuda3cub6detail10OpaqueTypeILi8EEEEELb0EPKS5_mNS0_19identity_decomposerEEEvT1_PT2_SH_SH_T3_jj,comdat
.Lfunc_end17:
	.size	_ZN7rocprim17ROCPRIM_304000_NS6detail26onesweep_histograms_kernelINS1_34wrapped_radix_sort_onesweep_configINS0_14default_configE12hip_bfloat16N2at4cuda3cub6detail10OpaqueTypeILi8EEEEELb0EPKS5_mNS0_19identity_decomposerEEEvT1_PT2_SH_SH_T3_jj, .Lfunc_end17-_ZN7rocprim17ROCPRIM_304000_NS6detail26onesweep_histograms_kernelINS1_34wrapped_radix_sort_onesweep_configINS0_14default_configE12hip_bfloat16N2at4cuda3cub6detail10OpaqueTypeILi8EEEEELb0EPKS5_mNS0_19identity_decomposerEEEvT1_PT2_SH_SH_T3_jj
                                        ; -- End function
	.section	.AMDGPU.csdata,"",@progbits
; Kernel info:
; codeLenInByte = 5484
; NumSgprs: 44
; NumVgprs: 24
; NumAgprs: 0
; TotalNumVgprs: 24
; ScratchSize: 0
; MemoryBound: 0
; FloatMode: 240
; IeeeMode: 1
; LDSByteSize: 8192 bytes/workgroup (compile time only)
; SGPRBlocks: 5
; VGPRBlocks: 2
; NumSGPRsForWavesPerEU: 44
; NumVGPRsForWavesPerEU: 24
; AccumOffset: 24
; Occupancy: 8
; WaveLimiterHint : 1
; COMPUTE_PGM_RSRC2:SCRATCH_EN: 0
; COMPUTE_PGM_RSRC2:USER_SGPR: 6
; COMPUTE_PGM_RSRC2:TRAP_HANDLER: 0
; COMPUTE_PGM_RSRC2:TGID_X_EN: 1
; COMPUTE_PGM_RSRC2:TGID_Y_EN: 0
; COMPUTE_PGM_RSRC2:TGID_Z_EN: 0
; COMPUTE_PGM_RSRC2:TIDIG_COMP_CNT: 0
; COMPUTE_PGM_RSRC3_GFX90A:ACCUM_OFFSET: 5
; COMPUTE_PGM_RSRC3_GFX90A:TG_SPLIT: 0
	.section	.text._ZN7rocprim17ROCPRIM_304000_NS6detail25onesweep_iteration_kernelINS1_34wrapped_radix_sort_onesweep_configINS0_14default_configE12hip_bfloat16N2at4cuda3cub6detail10OpaqueTypeILi8EEEEELb0EPKS5_PS5_PKSB_PSB_mNS0_19identity_decomposerEEEvT1_T2_T3_T4_jPT5_SP_PNS1_23onesweep_lookback_stateET6_jjj,"axG",@progbits,_ZN7rocprim17ROCPRIM_304000_NS6detail25onesweep_iteration_kernelINS1_34wrapped_radix_sort_onesweep_configINS0_14default_configE12hip_bfloat16N2at4cuda3cub6detail10OpaqueTypeILi8EEEEELb0EPKS5_PS5_PKSB_PSB_mNS0_19identity_decomposerEEEvT1_T2_T3_T4_jPT5_SP_PNS1_23onesweep_lookback_stateET6_jjj,comdat
	.protected	_ZN7rocprim17ROCPRIM_304000_NS6detail25onesweep_iteration_kernelINS1_34wrapped_radix_sort_onesweep_configINS0_14default_configE12hip_bfloat16N2at4cuda3cub6detail10OpaqueTypeILi8EEEEELb0EPKS5_PS5_PKSB_PSB_mNS0_19identity_decomposerEEEvT1_T2_T3_T4_jPT5_SP_PNS1_23onesweep_lookback_stateET6_jjj ; -- Begin function _ZN7rocprim17ROCPRIM_304000_NS6detail25onesweep_iteration_kernelINS1_34wrapped_radix_sort_onesweep_configINS0_14default_configE12hip_bfloat16N2at4cuda3cub6detail10OpaqueTypeILi8EEEEELb0EPKS5_PS5_PKSB_PSB_mNS0_19identity_decomposerEEEvT1_T2_T3_T4_jPT5_SP_PNS1_23onesweep_lookback_stateET6_jjj
	.globl	_ZN7rocprim17ROCPRIM_304000_NS6detail25onesweep_iteration_kernelINS1_34wrapped_radix_sort_onesweep_configINS0_14default_configE12hip_bfloat16N2at4cuda3cub6detail10OpaqueTypeILi8EEEEELb0EPKS5_PS5_PKSB_PSB_mNS0_19identity_decomposerEEEvT1_T2_T3_T4_jPT5_SP_PNS1_23onesweep_lookback_stateET6_jjj
	.p2align	8
	.type	_ZN7rocprim17ROCPRIM_304000_NS6detail25onesweep_iteration_kernelINS1_34wrapped_radix_sort_onesweep_configINS0_14default_configE12hip_bfloat16N2at4cuda3cub6detail10OpaqueTypeILi8EEEEELb0EPKS5_PS5_PKSB_PSB_mNS0_19identity_decomposerEEEvT1_T2_T3_T4_jPT5_SP_PNS1_23onesweep_lookback_stateET6_jjj,@function
_ZN7rocprim17ROCPRIM_304000_NS6detail25onesweep_iteration_kernelINS1_34wrapped_radix_sort_onesweep_configINS0_14default_configE12hip_bfloat16N2at4cuda3cub6detail10OpaqueTypeILi8EEEEELb0EPKS5_PS5_PKSB_PSB_mNS0_19identity_decomposerEEEvT1_T2_T3_T4_jPT5_SP_PNS1_23onesweep_lookback_stateET6_jjj: ; @_ZN7rocprim17ROCPRIM_304000_NS6detail25onesweep_iteration_kernelINS1_34wrapped_radix_sort_onesweep_configINS0_14default_configE12hip_bfloat16N2at4cuda3cub6detail10OpaqueTypeILi8EEEEELb0EPKS5_PS5_PKSB_PSB_mNS0_19identity_decomposerEEEvT1_T2_T3_T4_jPT5_SP_PNS1_23onesweep_lookback_stateET6_jjj
; %bb.0:
	s_load_dwordx4 s[68:71], s[4:5], 0x44
	s_load_dwordx8 s[56:63], s[4:5], 0x0
	s_load_dwordx4 s[64:67], s[4:5], 0x28
	s_load_dwordx2 s[72:73], s[4:5], 0x38
	s_mov_b32 s7, s6
	s_waitcnt lgkmcnt(0)
	s_cmp_ge_u32 s6, s70
	s_mul_i32 s54, s6, 0xc00
	v_mbcnt_lo_u32_b32 v1, -1, 0
	s_cbranch_scc0 .LBB18_129
; %bb.1:
	s_load_dword s2, s[4:5], 0x20
	s_mulk_i32 s70, 0xf400
	s_mov_b32 s55, 0
	s_lshl_b64 s[0:1], s[54:55], 1
	v_and_b32_e32 v2, 0x3ff, v0
	s_waitcnt lgkmcnt(0)
	s_add_i32 s70, s70, s2
	s_add_u32 s0, s56, s0
	v_mbcnt_hi_u32_b32 v13, -1, v1
	s_addc_u32 s1, s57, s1
	v_and_b32_e32 v3, 0xc0, v2
	v_lshlrev_b32_e32 v4, 1, v13
	v_mul_u32_u24_e32 v12, 12, v3
	v_mov_b32_e32 v5, s1
	v_add_co_u32_e32 v4, vcc, s0, v4
	v_addc_co_u32_e32 v5, vcc, 0, v5, vcc
	v_lshlrev_b32_e32 v6, 1, v12
	v_add_co_u32_e32 v4, vcc, v4, v6
	v_addc_co_u32_e32 v5, vcc, 0, v5, vcc
	v_or_b32_e32 v7, v13, v12
	v_cmp_gt_u32_e32 vcc, s70, v7
	v_mov_b32_e32 v10, 0x7fff
	v_mov_b32_e32 v6, 0x7fff
	s_and_saveexec_b64 s[0:1], vcc
	s_cbranch_execz .LBB18_3
; %bb.2:
	global_load_ushort v6, v[4:5], off
.LBB18_3:
	s_or_b64 exec, exec, s[0:1]
	v_add_u32_e32 v8, 64, v7
	v_cmp_gt_u32_e64 s[0:1], s70, v8
	s_and_saveexec_b64 s[2:3], s[0:1]
	s_cbranch_execz .LBB18_5
; %bb.4:
	global_load_ushort v10, v[4:5], off offset:128
.LBB18_5:
	s_or_b64 exec, exec, s[2:3]
	v_add_u32_e32 v8, 0x80, v7
	v_cmp_gt_u32_e64 s[2:3], s70, v8
	v_mov_b32_e32 v24, 0x7fff
	v_mov_b32_e32 v19, 0x7fff
	s_and_saveexec_b64 s[8:9], s[2:3]
	s_cbranch_execz .LBB18_7
; %bb.6:
	global_load_ushort v19, v[4:5], off offset:256
.LBB18_7:
	s_or_b64 exec, exec, s[8:9]
	v_add_u32_e32 v8, 0xc0, v7
	v_cmp_gt_u32_e64 s[50:51], s70, v8
	s_and_saveexec_b64 s[8:9], s[50:51]
	s_cbranch_execz .LBB18_9
; %bb.8:
	global_load_ushort v24, v[4:5], off offset:384
.LBB18_9:
	s_or_b64 exec, exec, s[8:9]
	v_add_u32_e32 v8, 0x100, v7
	v_cmp_gt_u32_e64 s[8:9], s70, v8
	v_mov_b32_e32 v36, 0x7fff
	v_mov_b32_e32 v29, 0x7fff
	s_and_saveexec_b64 s[10:11], s[8:9]
	s_cbranch_execz .LBB18_11
; %bb.10:
	global_load_ushort v29, v[4:5], off offset:512
.LBB18_11:
	;; [unrolled: 18-line block ×5, first 2 shown]
	s_or_b64 exec, exec, s[10:11]
	v_add_u32_e32 v7, 0x2c0, v7
	v_cmp_gt_u32_e64 s[10:11], s70, v7
	s_and_saveexec_b64 s[24:25], s[10:11]
	s_cbranch_execz .LBB18_25
; %bb.24:
	global_load_ushort v16, v[4:5], off offset:1408
.LBB18_25:
	s_or_b64 exec, exec, s[24:25]
	s_load_dword s24, s[4:5], 0x5c
	s_load_dword s33, s[4:5], 0x50
	s_add_u32 s25, s4, 0x50
	s_addc_u32 s26, s5, 0
	v_mov_b32_e32 v4, 0
	s_waitcnt lgkmcnt(0)
	s_lshr_b32 s27, s24, 16
	s_cmp_lt_u32 s6, s33
	s_cselect_b32 s24, 12, 18
	s_add_u32 s24, s25, s24
	s_addc_u32 s25, s26, 0
	global_load_ushort v7, v4, s[24:25]
	v_mov_b32_e32 v15, 0xffff8000
	s_waitcnt vmcnt(1)
	v_cmp_lt_i16_e64 s[24:25], -1, v6
	v_mul_u32_u24_e32 v8, 5, v2
	v_cndmask_b32_e64 v14, -1, v15, s[24:25]
	s_movk_i32 s28, 0x7fff
	v_lshlrev_b32_e32 v9, 2, v8
	v_xor_b32_e32 v8, v14, v6
	v_cmp_ne_u16_e64 s[24:25], s28, v8
	v_cndmask_b32_e64 v6, v15, v8, s[24:25]
	s_lshl_b32 s24, -1, s69
	v_lshrrev_b32_sdwa v6, s68, v6 dst_sel:DWORD dst_unused:UNUSED_PAD src0_sel:DWORD src1_sel:WORD_0
	s_not_b32 s74, s24
	v_and_b32_e32 v14, s74, v6
	v_and_b32_e32 v6, 1, v14
	v_bfe_u32 v5, v0, 10, 10
	v_bfe_u32 v11, v0, 20, 10
	v_add_co_u32_e64 v18, s[24:25], -1, v6
	v_mad_u32_u24 v11, v11, s27, v5
	v_lshlrev_b32_e32 v5, 30, v14
	v_addc_co_u32_e64 v20, s[24:25], 0, -1, s[24:25]
	v_cmp_ne_u32_e64 s[24:25], 0, v6
	v_cmp_gt_i64_e64 s[26:27], 0, v[4:5]
	v_not_b32_e32 v6, v5
	v_lshlrev_b32_e32 v5, 29, v14
	v_xor_b32_e32 v20, s25, v20
	v_xor_b32_e32 v18, s24, v18
	v_ashrrev_i32_e32 v6, 31, v6
	v_cmp_gt_i64_e64 s[24:25], 0, v[4:5]
	v_not_b32_e32 v22, v5
	v_lshlrev_b32_e32 v5, 28, v14
	v_and_b32_e32 v20, exec_hi, v20
	v_and_b32_e32 v18, exec_lo, v18
	v_xor_b32_e32 v23, s27, v6
	v_xor_b32_e32 v6, s26, v6
	v_ashrrev_i32_e32 v22, 31, v22
	v_cmp_gt_i64_e64 s[26:27], 0, v[4:5]
	v_not_b32_e32 v25, v5
	v_lshlrev_b32_e32 v5, 27, v14
	v_and_b32_e32 v20, v20, v23
	v_and_b32_e32 v6, v18, v6
	v_xor_b32_e32 v18, s25, v22
	v_xor_b32_e32 v22, s24, v22
	v_ashrrev_i32_e32 v23, 31, v25
	v_cmp_gt_i64_e64 s[24:25], 0, v[4:5]
	v_not_b32_e32 v25, v5
	v_lshlrev_b32_e32 v5, 26, v14
	v_and_b32_e32 v18, v20, v18
	v_and_b32_e32 v6, v6, v22
	v_xor_b32_e32 v20, s27, v23
	v_xor_b32_e32 v22, s26, v23
	v_ashrrev_i32_e32 v23, 31, v25
	v_not_b32_e32 v25, v5
	v_cmp_gt_i64_e64 s[26:27], 0, v[4:5]
	v_lshlrev_b32_e32 v5, 25, v14
	v_and_b32_e32 v18, v18, v20
	v_and_b32_e32 v6, v6, v22
	v_xor_b32_e32 v20, s25, v23
	v_xor_b32_e32 v22, s24, v23
	v_ashrrev_i32_e32 v23, 31, v25
	v_cmp_gt_i64_e64 s[24:25], 0, v[4:5]
	v_not_b32_e32 v5, v5
	v_and_b32_e32 v18, v18, v20
	v_and_b32_e32 v6, v6, v22
	v_xor_b32_e32 v20, s27, v23
	v_xor_b32_e32 v22, s26, v23
	v_ashrrev_i32_e32 v5, 31, v5
	v_and_b32_e32 v18, v18, v20
	v_and_b32_e32 v20, v6, v22
	v_mul_u32_u24_e32 v17, 5, v14
	v_xor_b32_e32 v22, s25, v5
	v_xor_b32_e32 v5, s24, v5
	ds_write2_b32 v9, v4, v4 offset0:4 offset1:5
	ds_write2_b32 v9, v4, v4 offset0:6 offset1:7
	ds_write_b32 v9, v4 offset:32
	s_waitcnt lgkmcnt(0)
	s_barrier
	s_waitcnt lgkmcnt(0)
	; wave barrier
	s_waitcnt vmcnt(0)
	v_mad_u64_u32 v[6:7], s[26:27], v11, v7, v[2:3]
	v_lshrrev_b32_e32 v23, 6, v6
	v_add_lshl_u32 v11, v23, v17, 2
	v_and_b32_e32 v17, v20, v5
	v_lshlrev_b32_e32 v5, 24, v14
	v_cmp_gt_i64_e64 s[24:25], 0, v[4:5]
	v_not_b32_e32 v5, v5
	v_ashrrev_i32_e32 v5, 31, v5
	v_and_b32_e32 v6, v18, v22
	v_xor_b32_e32 v7, s25, v5
	v_xor_b32_e32 v5, s24, v5
	v_and_b32_e32 v7, v6, v7
	v_and_b32_e32 v6, v17, v5
	v_mbcnt_lo_u32_b32 v5, v6, 0
	v_mbcnt_hi_u32_b32 v14, v7, v5
	v_cmp_eq_u32_e64 s[24:25], 0, v14
	v_cmp_ne_u64_e64 s[26:27], 0, v[6:7]
	s_and_b64 s[26:27], s[26:27], s[24:25]
	s_and_saveexec_b64 s[24:25], s[26:27]
	s_cbranch_execz .LBB18_27
; %bb.26:
	v_bcnt_u32_b32 v5, v6, 0
	v_bcnt_u32_b32 v5, v7, v5
	ds_write_b32 v11, v5 offset:16
.LBB18_27:
	s_or_b64 exec, exec, s[24:25]
	v_cmp_lt_i16_e64 s[24:25], -1, v10
	v_cndmask_b32_e64 v5, -1, v15, s[24:25]
	v_xor_b32_e32 v10, v5, v10
	v_cmp_ne_u16_e64 s[24:25], s28, v10
	v_cndmask_b32_e64 v5, v15, v10, s[24:25]
	v_lshrrev_b32_sdwa v5, s68, v5 dst_sel:DWORD dst_unused:UNUSED_PAD src0_sel:DWORD src1_sel:WORD_0
	v_and_b32_e32 v6, s74, v5
	v_mul_u32_u24_e32 v5, 5, v6
	v_add_lshl_u32 v17, v23, v5, 2
	v_and_b32_e32 v5, 1, v6
	v_add_co_u32_e64 v7, s[24:25], -1, v5
	v_addc_co_u32_e64 v18, s[24:25], 0, -1, s[24:25]
	v_cmp_ne_u32_e64 s[24:25], 0, v5
	v_xor_b32_e32 v5, s25, v18
	v_and_b32_e32 v18, exec_hi, v5
	v_lshlrev_b32_e32 v5, 30, v6
	v_xor_b32_e32 v7, s24, v7
	v_cmp_gt_i64_e64 s[24:25], 0, v[4:5]
	v_not_b32_e32 v5, v5
	v_ashrrev_i32_e32 v5, 31, v5
	v_and_b32_e32 v7, exec_lo, v7
	v_xor_b32_e32 v20, s25, v5
	v_xor_b32_e32 v5, s24, v5
	v_and_b32_e32 v7, v7, v5
	v_lshlrev_b32_e32 v5, 29, v6
	v_cmp_gt_i64_e64 s[24:25], 0, v[4:5]
	v_not_b32_e32 v5, v5
	v_ashrrev_i32_e32 v5, 31, v5
	v_and_b32_e32 v18, v18, v20
	v_xor_b32_e32 v20, s25, v5
	v_xor_b32_e32 v5, s24, v5
	v_and_b32_e32 v7, v7, v5
	v_lshlrev_b32_e32 v5, 28, v6
	v_cmp_gt_i64_e64 s[24:25], 0, v[4:5]
	v_not_b32_e32 v5, v5
	v_ashrrev_i32_e32 v5, 31, v5
	v_and_b32_e32 v18, v18, v20
	;; [unrolled: 8-line block ×5, first 2 shown]
	v_xor_b32_e32 v20, s25, v5
	v_xor_b32_e32 v5, s24, v5
	v_and_b32_e32 v7, v7, v5
	v_lshlrev_b32_e32 v5, 24, v6
	v_cmp_gt_i64_e64 s[24:25], 0, v[4:5]
	v_not_b32_e32 v4, v5
	v_ashrrev_i32_e32 v4, 31, v4
	v_xor_b32_e32 v5, s25, v4
	v_xor_b32_e32 v4, s24, v4
	; wave barrier
	ds_read_b32 v15, v17 offset:16
	v_and_b32_e32 v18, v18, v20
	v_and_b32_e32 v4, v7, v4
	;; [unrolled: 1-line block ×3, first 2 shown]
	v_mbcnt_lo_u32_b32 v6, v4, 0
	v_mbcnt_hi_u32_b32 v18, v5, v6
	v_cmp_eq_u32_e64 s[24:25], 0, v18
	v_cmp_ne_u64_e64 s[26:27], 0, v[4:5]
	s_and_b64 s[26:27], s[26:27], s[24:25]
	; wave barrier
	s_and_saveexec_b64 s[24:25], s[26:27]
	s_cbranch_execz .LBB18_29
; %bb.28:
	v_bcnt_u32_b32 v4, v4, 0
	v_bcnt_u32_b32 v4, v5, v4
	s_waitcnt lgkmcnt(0)
	v_add_u32_e32 v4, v15, v4
	ds_write_b32 v17, v4 offset:16
.LBB18_29:
	s_or_b64 exec, exec, s[24:25]
	v_mov_b32_e32 v27, 0xffff8000
	v_cmp_lt_i16_e64 s[24:25], -1, v19
	v_cndmask_b32_e64 v4, -1, v27, s[24:25]
	v_xor_b32_e32 v19, v4, v19
	v_cmp_ne_u16_e64 s[24:25], s28, v19
	v_cndmask_b32_e64 v4, v27, v19, s[24:25]
	v_lshrrev_b32_sdwa v4, s68, v4 dst_sel:DWORD dst_unused:UNUSED_PAD src0_sel:DWORD src1_sel:WORD_0
	v_and_b32_e32 v6, s74, v4
	v_and_b32_e32 v5, 1, v6
	v_add_co_u32_e64 v7, s[24:25], -1, v5
	v_addc_co_u32_e64 v25, s[24:25], 0, -1, s[24:25]
	v_cmp_ne_u32_e64 s[24:25], 0, v5
	v_mul_u32_u24_e32 v4, 5, v6
	v_xor_b32_e32 v5, s25, v25
	v_add_lshl_u32 v22, v23, v4, 2
	v_mov_b32_e32 v4, 0
	v_and_b32_e32 v25, exec_hi, v5
	v_lshlrev_b32_e32 v5, 30, v6
	v_xor_b32_e32 v7, s24, v7
	v_cmp_gt_i64_e64 s[24:25], 0, v[4:5]
	v_not_b32_e32 v5, v5
	v_ashrrev_i32_e32 v5, 31, v5
	v_and_b32_e32 v7, exec_lo, v7
	v_xor_b32_e32 v28, s25, v5
	v_xor_b32_e32 v5, s24, v5
	v_and_b32_e32 v7, v7, v5
	v_lshlrev_b32_e32 v5, 29, v6
	v_cmp_gt_i64_e64 s[24:25], 0, v[4:5]
	v_not_b32_e32 v5, v5
	v_ashrrev_i32_e32 v5, 31, v5
	v_and_b32_e32 v25, v25, v28
	v_xor_b32_e32 v28, s25, v5
	v_xor_b32_e32 v5, s24, v5
	v_and_b32_e32 v7, v7, v5
	v_lshlrev_b32_e32 v5, 28, v6
	v_cmp_gt_i64_e64 s[24:25], 0, v[4:5]
	v_not_b32_e32 v5, v5
	v_ashrrev_i32_e32 v5, 31, v5
	v_and_b32_e32 v25, v25, v28
	;; [unrolled: 8-line block ×5, first 2 shown]
	v_xor_b32_e32 v28, s25, v5
	v_xor_b32_e32 v5, s24, v5
	v_and_b32_e32 v25, v25, v28
	v_and_b32_e32 v28, v7, v5
	v_lshlrev_b32_e32 v5, 24, v6
	v_cmp_gt_i64_e64 s[24:25], 0, v[4:5]
	v_not_b32_e32 v5, v5
	v_ashrrev_i32_e32 v5, 31, v5
	v_xor_b32_e32 v6, s25, v5
	v_xor_b32_e32 v5, s24, v5
	; wave barrier
	ds_read_b32 v20, v22 offset:16
	v_and_b32_e32 v7, v25, v6
	v_and_b32_e32 v6, v28, v5
	v_mbcnt_lo_u32_b32 v5, v6, 0
	v_mbcnt_hi_u32_b32 v25, v7, v5
	v_cmp_eq_u32_e64 s[24:25], 0, v25
	v_cmp_ne_u64_e64 s[26:27], 0, v[6:7]
	s_and_b64 s[26:27], s[26:27], s[24:25]
	; wave barrier
	s_and_saveexec_b64 s[24:25], s[26:27]
	s_cbranch_execz .LBB18_31
; %bb.30:
	v_bcnt_u32_b32 v5, v6, 0
	v_bcnt_u32_b32 v5, v7, v5
	s_waitcnt lgkmcnt(0)
	v_add_u32_e32 v5, v20, v5
	ds_write_b32 v22, v5 offset:16
.LBB18_31:
	s_or_b64 exec, exec, s[24:25]
	v_cmp_lt_i16_e64 s[24:25], -1, v24
	v_cndmask_b32_e64 v5, -1, v27, s[24:25]
	v_xor_b32_e32 v24, v5, v24
	v_cmp_ne_u16_e64 s[24:25], s28, v24
	v_cndmask_b32_e64 v5, v27, v24, s[24:25]
	v_lshrrev_b32_sdwa v5, s68, v5 dst_sel:DWORD dst_unused:UNUSED_PAD src0_sel:DWORD src1_sel:WORD_0
	v_and_b32_e32 v6, s74, v5
	v_mul_u32_u24_e32 v5, 5, v6
	v_add_lshl_u32 v28, v23, v5, 2
	v_and_b32_e32 v5, 1, v6
	v_add_co_u32_e64 v7, s[24:25], -1, v5
	v_addc_co_u32_e64 v30, s[24:25], 0, -1, s[24:25]
	v_cmp_ne_u32_e64 s[24:25], 0, v5
	v_xor_b32_e32 v5, s25, v30
	v_and_b32_e32 v30, exec_hi, v5
	v_lshlrev_b32_e32 v5, 30, v6
	v_xor_b32_e32 v7, s24, v7
	v_cmp_gt_i64_e64 s[24:25], 0, v[4:5]
	v_not_b32_e32 v5, v5
	v_ashrrev_i32_e32 v5, 31, v5
	v_and_b32_e32 v7, exec_lo, v7
	v_xor_b32_e32 v32, s25, v5
	v_xor_b32_e32 v5, s24, v5
	v_and_b32_e32 v7, v7, v5
	v_lshlrev_b32_e32 v5, 29, v6
	v_cmp_gt_i64_e64 s[24:25], 0, v[4:5]
	v_not_b32_e32 v5, v5
	v_ashrrev_i32_e32 v5, 31, v5
	v_and_b32_e32 v30, v30, v32
	v_xor_b32_e32 v32, s25, v5
	v_xor_b32_e32 v5, s24, v5
	v_and_b32_e32 v7, v7, v5
	v_lshlrev_b32_e32 v5, 28, v6
	v_cmp_gt_i64_e64 s[24:25], 0, v[4:5]
	v_not_b32_e32 v5, v5
	v_ashrrev_i32_e32 v5, 31, v5
	v_and_b32_e32 v30, v30, v32
	;; [unrolled: 8-line block ×5, first 2 shown]
	v_xor_b32_e32 v32, s25, v5
	v_xor_b32_e32 v5, s24, v5
	v_and_b32_e32 v7, v7, v5
	v_lshlrev_b32_e32 v5, 24, v6
	v_cmp_gt_i64_e64 s[24:25], 0, v[4:5]
	v_not_b32_e32 v4, v5
	v_ashrrev_i32_e32 v4, 31, v4
	v_xor_b32_e32 v5, s25, v4
	v_xor_b32_e32 v4, s24, v4
	; wave barrier
	ds_read_b32 v27, v28 offset:16
	v_and_b32_e32 v30, v30, v32
	v_and_b32_e32 v4, v7, v4
	;; [unrolled: 1-line block ×3, first 2 shown]
	v_mbcnt_lo_u32_b32 v6, v4, 0
	v_mbcnt_hi_u32_b32 v30, v5, v6
	v_cmp_eq_u32_e64 s[24:25], 0, v30
	v_cmp_ne_u64_e64 s[26:27], 0, v[4:5]
	s_and_b64 s[26:27], s[26:27], s[24:25]
	; wave barrier
	s_and_saveexec_b64 s[24:25], s[26:27]
	s_cbranch_execz .LBB18_33
; %bb.32:
	v_bcnt_u32_b32 v4, v4, 0
	v_bcnt_u32_b32 v4, v5, v4
	s_waitcnt lgkmcnt(0)
	v_add_u32_e32 v4, v27, v4
	ds_write_b32 v28, v4 offset:16
.LBB18_33:
	s_or_b64 exec, exec, s[24:25]
	v_mov_b32_e32 v37, 0xffff8000
	v_cmp_lt_i16_e64 s[24:25], -1, v29
	v_cndmask_b32_e64 v4, -1, v37, s[24:25]
	v_xor_b32_e32 v29, v4, v29
	v_cmp_ne_u16_e64 s[24:25], s28, v29
	v_cndmask_b32_e64 v4, v37, v29, s[24:25]
	v_lshrrev_b32_sdwa v4, s68, v4 dst_sel:DWORD dst_unused:UNUSED_PAD src0_sel:DWORD src1_sel:WORD_0
	v_and_b32_e32 v6, s74, v4
	v_and_b32_e32 v5, 1, v6
	v_add_co_u32_e64 v7, s[24:25], -1, v5
	v_addc_co_u32_e64 v35, s[24:25], 0, -1, s[24:25]
	v_cmp_ne_u32_e64 s[24:25], 0, v5
	v_mul_u32_u24_e32 v4, 5, v6
	v_xor_b32_e32 v5, s25, v35
	v_add_lshl_u32 v33, v23, v4, 2
	v_mov_b32_e32 v4, 0
	v_and_b32_e32 v35, exec_hi, v5
	v_lshlrev_b32_e32 v5, 30, v6
	v_xor_b32_e32 v7, s24, v7
	v_cmp_gt_i64_e64 s[24:25], 0, v[4:5]
	v_not_b32_e32 v5, v5
	v_ashrrev_i32_e32 v5, 31, v5
	v_and_b32_e32 v7, exec_lo, v7
	v_xor_b32_e32 v38, s25, v5
	v_xor_b32_e32 v5, s24, v5
	v_and_b32_e32 v7, v7, v5
	v_lshlrev_b32_e32 v5, 29, v6
	v_cmp_gt_i64_e64 s[24:25], 0, v[4:5]
	v_not_b32_e32 v5, v5
	v_ashrrev_i32_e32 v5, 31, v5
	v_and_b32_e32 v35, v35, v38
	v_xor_b32_e32 v38, s25, v5
	v_xor_b32_e32 v5, s24, v5
	v_and_b32_e32 v7, v7, v5
	v_lshlrev_b32_e32 v5, 28, v6
	v_cmp_gt_i64_e64 s[24:25], 0, v[4:5]
	v_not_b32_e32 v5, v5
	v_ashrrev_i32_e32 v5, 31, v5
	v_and_b32_e32 v35, v35, v38
	;; [unrolled: 8-line block ×5, first 2 shown]
	v_xor_b32_e32 v38, s25, v5
	v_xor_b32_e32 v5, s24, v5
	v_and_b32_e32 v35, v35, v38
	v_and_b32_e32 v38, v7, v5
	v_lshlrev_b32_e32 v5, 24, v6
	v_cmp_gt_i64_e64 s[24:25], 0, v[4:5]
	v_not_b32_e32 v5, v5
	v_ashrrev_i32_e32 v5, 31, v5
	v_xor_b32_e32 v6, s25, v5
	v_xor_b32_e32 v5, s24, v5
	; wave barrier
	ds_read_b32 v32, v33 offset:16
	v_and_b32_e32 v7, v35, v6
	v_and_b32_e32 v6, v38, v5
	v_mbcnt_lo_u32_b32 v5, v6, 0
	v_mbcnt_hi_u32_b32 v35, v7, v5
	v_cmp_eq_u32_e64 s[24:25], 0, v35
	v_cmp_ne_u64_e64 s[26:27], 0, v[6:7]
	s_and_b64 s[26:27], s[26:27], s[24:25]
	; wave barrier
	s_and_saveexec_b64 s[24:25], s[26:27]
	s_cbranch_execz .LBB18_35
; %bb.34:
	v_bcnt_u32_b32 v5, v6, 0
	v_bcnt_u32_b32 v5, v7, v5
	s_waitcnt lgkmcnt(0)
	v_add_u32_e32 v5, v32, v5
	ds_write_b32 v33, v5 offset:16
.LBB18_35:
	s_or_b64 exec, exec, s[24:25]
	v_cmp_lt_i16_e64 s[24:25], -1, v36
	v_cndmask_b32_e64 v5, -1, v37, s[24:25]
	v_xor_b32_e32 v46, v5, v36
	v_cmp_ne_u16_e64 s[24:25], s28, v46
	v_cndmask_b32_e64 v5, v37, v46, s[24:25]
	v_lshrrev_b32_sdwa v5, s68, v5 dst_sel:DWORD dst_unused:UNUSED_PAD src0_sel:DWORD src1_sel:WORD_0
	v_and_b32_e32 v6, s74, v5
	v_mul_u32_u24_e32 v5, 5, v6
	v_add_lshl_u32 v37, v23, v5, 2
	v_and_b32_e32 v5, 1, v6
	v_add_co_u32_e64 v7, s[24:25], -1, v5
	v_addc_co_u32_e64 v38, s[24:25], 0, -1, s[24:25]
	v_cmp_ne_u32_e64 s[24:25], 0, v5
	v_xor_b32_e32 v5, s25, v38
	v_and_b32_e32 v38, exec_hi, v5
	v_lshlrev_b32_e32 v5, 30, v6
	v_xor_b32_e32 v7, s24, v7
	v_cmp_gt_i64_e64 s[24:25], 0, v[4:5]
	v_not_b32_e32 v5, v5
	v_ashrrev_i32_e32 v5, 31, v5
	v_and_b32_e32 v7, exec_lo, v7
	v_xor_b32_e32 v40, s25, v5
	v_xor_b32_e32 v5, s24, v5
	v_and_b32_e32 v7, v7, v5
	v_lshlrev_b32_e32 v5, 29, v6
	v_cmp_gt_i64_e64 s[24:25], 0, v[4:5]
	v_not_b32_e32 v5, v5
	v_ashrrev_i32_e32 v5, 31, v5
	v_and_b32_e32 v38, v38, v40
	v_xor_b32_e32 v40, s25, v5
	v_xor_b32_e32 v5, s24, v5
	v_and_b32_e32 v7, v7, v5
	v_lshlrev_b32_e32 v5, 28, v6
	v_cmp_gt_i64_e64 s[24:25], 0, v[4:5]
	v_not_b32_e32 v5, v5
	v_ashrrev_i32_e32 v5, 31, v5
	v_and_b32_e32 v38, v38, v40
	;; [unrolled: 8-line block ×5, first 2 shown]
	v_xor_b32_e32 v40, s25, v5
	v_xor_b32_e32 v5, s24, v5
	v_and_b32_e32 v7, v7, v5
	v_lshlrev_b32_e32 v5, 24, v6
	v_cmp_gt_i64_e64 s[24:25], 0, v[4:5]
	v_not_b32_e32 v4, v5
	v_ashrrev_i32_e32 v4, 31, v4
	v_xor_b32_e32 v5, s25, v4
	v_xor_b32_e32 v4, s24, v4
	; wave barrier
	ds_read_b32 v36, v37 offset:16
	v_and_b32_e32 v38, v38, v40
	v_and_b32_e32 v4, v7, v4
	;; [unrolled: 1-line block ×3, first 2 shown]
	v_mbcnt_lo_u32_b32 v6, v4, 0
	v_mbcnt_hi_u32_b32 v38, v5, v6
	v_cmp_eq_u32_e64 s[24:25], 0, v38
	v_cmp_ne_u64_e64 s[26:27], 0, v[4:5]
	s_and_b64 s[26:27], s[26:27], s[24:25]
	; wave barrier
	s_and_saveexec_b64 s[24:25], s[26:27]
	s_cbranch_execz .LBB18_37
; %bb.36:
	v_bcnt_u32_b32 v4, v4, 0
	v_bcnt_u32_b32 v4, v5, v4
	s_waitcnt lgkmcnt(0)
	v_add_u32_e32 v4, v36, v4
	ds_write_b32 v37, v4 offset:16
.LBB18_37:
	s_or_b64 exec, exec, s[24:25]
	v_mov_b32_e32 v41, 0xffff8000
	v_cmp_lt_i16_e64 s[24:25], -1, v39
	v_cndmask_b32_e64 v4, -1, v41, s[24:25]
	v_xor_b32_e32 v47, v4, v39
	v_cmp_ne_u16_e64 s[24:25], s28, v47
	v_cndmask_b32_e64 v4, v41, v47, s[24:25]
	v_lshrrev_b32_sdwa v4, s68, v4 dst_sel:DWORD dst_unused:UNUSED_PAD src0_sel:DWORD src1_sel:WORD_0
	v_and_b32_e32 v6, s74, v4
	v_and_b32_e32 v5, 1, v6
	v_add_co_u32_e64 v7, s[24:25], -1, v5
	v_addc_co_u32_e64 v42, s[24:25], 0, -1, s[24:25]
	v_cmp_ne_u32_e64 s[24:25], 0, v5
	v_mul_u32_u24_e32 v4, 5, v6
	v_xor_b32_e32 v5, s25, v42
	v_add_lshl_u32 v40, v23, v4, 2
	v_mov_b32_e32 v4, 0
	v_and_b32_e32 v42, exec_hi, v5
	v_lshlrev_b32_e32 v5, 30, v6
	v_xor_b32_e32 v7, s24, v7
	v_cmp_gt_i64_e64 s[24:25], 0, v[4:5]
	v_not_b32_e32 v5, v5
	v_ashrrev_i32_e32 v5, 31, v5
	v_and_b32_e32 v7, exec_lo, v7
	v_xor_b32_e32 v43, s25, v5
	v_xor_b32_e32 v5, s24, v5
	v_and_b32_e32 v7, v7, v5
	v_lshlrev_b32_e32 v5, 29, v6
	v_cmp_gt_i64_e64 s[24:25], 0, v[4:5]
	v_not_b32_e32 v5, v5
	v_ashrrev_i32_e32 v5, 31, v5
	v_and_b32_e32 v42, v42, v43
	v_xor_b32_e32 v43, s25, v5
	v_xor_b32_e32 v5, s24, v5
	v_and_b32_e32 v7, v7, v5
	v_lshlrev_b32_e32 v5, 28, v6
	v_cmp_gt_i64_e64 s[24:25], 0, v[4:5]
	v_not_b32_e32 v5, v5
	v_ashrrev_i32_e32 v5, 31, v5
	v_and_b32_e32 v42, v42, v43
	;; [unrolled: 8-line block ×5, first 2 shown]
	v_xor_b32_e32 v43, s25, v5
	v_xor_b32_e32 v5, s24, v5
	v_and_b32_e32 v42, v42, v43
	v_and_b32_e32 v43, v7, v5
	v_lshlrev_b32_e32 v5, 24, v6
	v_cmp_gt_i64_e64 s[24:25], 0, v[4:5]
	v_not_b32_e32 v5, v5
	v_ashrrev_i32_e32 v5, 31, v5
	v_xor_b32_e32 v6, s25, v5
	v_xor_b32_e32 v5, s24, v5
	; wave barrier
	ds_read_b32 v39, v40 offset:16
	v_and_b32_e32 v7, v42, v6
	v_and_b32_e32 v6, v43, v5
	v_mbcnt_lo_u32_b32 v5, v6, 0
	v_mbcnt_hi_u32_b32 v49, v7, v5
	v_cmp_eq_u32_e64 s[24:25], 0, v49
	v_cmp_ne_u64_e64 s[26:27], 0, v[6:7]
	s_and_b64 s[26:27], s[26:27], s[24:25]
	; wave barrier
	s_and_saveexec_b64 s[24:25], s[26:27]
	s_cbranch_execz .LBB18_39
; %bb.38:
	v_bcnt_u32_b32 v5, v6, 0
	v_bcnt_u32_b32 v5, v7, v5
	s_waitcnt lgkmcnt(0)
	v_add_u32_e32 v5, v39, v5
	ds_write_b32 v40, v5 offset:16
.LBB18_39:
	s_or_b64 exec, exec, s[24:25]
	v_cmp_lt_i16_e64 s[24:25], -1, v34
	v_cndmask_b32_e64 v5, -1, v41, s[24:25]
	v_xor_b32_e32 v48, v5, v34
	v_cmp_ne_u16_e64 s[24:25], s28, v48
	v_cndmask_b32_e64 v5, v41, v48, s[24:25]
	v_lshrrev_b32_sdwa v5, s68, v5 dst_sel:DWORD dst_unused:UNUSED_PAD src0_sel:DWORD src1_sel:WORD_0
	v_and_b32_e32 v6, s74, v5
	v_mul_u32_u24_e32 v5, 5, v6
	v_add_lshl_u32 v41, v23, v5, 2
	v_and_b32_e32 v5, 1, v6
	v_add_co_u32_e64 v7, s[24:25], -1, v5
	v_addc_co_u32_e64 v42, s[24:25], 0, -1, s[24:25]
	v_cmp_ne_u32_e64 s[24:25], 0, v5
	v_xor_b32_e32 v5, s25, v42
	v_and_b32_e32 v42, exec_hi, v5
	v_lshlrev_b32_e32 v5, 30, v6
	v_xor_b32_e32 v7, s24, v7
	v_cmp_gt_i64_e64 s[24:25], 0, v[4:5]
	v_not_b32_e32 v5, v5
	v_ashrrev_i32_e32 v5, 31, v5
	v_and_b32_e32 v7, exec_lo, v7
	v_xor_b32_e32 v43, s25, v5
	v_xor_b32_e32 v5, s24, v5
	v_and_b32_e32 v7, v7, v5
	v_lshlrev_b32_e32 v5, 29, v6
	v_cmp_gt_i64_e64 s[24:25], 0, v[4:5]
	v_not_b32_e32 v5, v5
	v_ashrrev_i32_e32 v5, 31, v5
	v_and_b32_e32 v42, v42, v43
	v_xor_b32_e32 v43, s25, v5
	v_xor_b32_e32 v5, s24, v5
	v_and_b32_e32 v7, v7, v5
	v_lshlrev_b32_e32 v5, 28, v6
	v_cmp_gt_i64_e64 s[24:25], 0, v[4:5]
	v_not_b32_e32 v5, v5
	v_ashrrev_i32_e32 v5, 31, v5
	v_and_b32_e32 v42, v42, v43
	;; [unrolled: 8-line block ×5, first 2 shown]
	v_xor_b32_e32 v43, s25, v5
	v_xor_b32_e32 v5, s24, v5
	v_and_b32_e32 v7, v7, v5
	v_lshlrev_b32_e32 v5, 24, v6
	v_cmp_gt_i64_e64 s[24:25], 0, v[4:5]
	v_not_b32_e32 v4, v5
	v_ashrrev_i32_e32 v4, 31, v4
	v_xor_b32_e32 v5, s25, v4
	v_xor_b32_e32 v4, s24, v4
	; wave barrier
	ds_read_b32 v34, v41 offset:16
	v_and_b32_e32 v42, v42, v43
	v_and_b32_e32 v4, v7, v4
	;; [unrolled: 1-line block ×3, first 2 shown]
	v_mbcnt_lo_u32_b32 v6, v4, 0
	v_mbcnt_hi_u32_b32 v50, v5, v6
	v_cmp_eq_u32_e64 s[24:25], 0, v50
	v_cmp_ne_u64_e64 s[26:27], 0, v[4:5]
	s_and_b64 s[26:27], s[26:27], s[24:25]
	; wave barrier
	s_and_saveexec_b64 s[24:25], s[26:27]
	s_cbranch_execz .LBB18_41
; %bb.40:
	v_bcnt_u32_b32 v4, v4, 0
	v_bcnt_u32_b32 v4, v5, v4
	s_waitcnt lgkmcnt(0)
	v_add_u32_e32 v4, v34, v4
	ds_write_b32 v41, v4 offset:16
.LBB18_41:
	s_or_b64 exec, exec, s[24:25]
	v_mov_b32_e32 v43, 0xffff8000
	v_cmp_lt_i16_e64 s[24:25], -1, v31
	v_cndmask_b32_e64 v4, -1, v43, s[24:25]
	v_xor_b32_e32 v31, v4, v31
	v_cmp_ne_u16_e64 s[24:25], s28, v31
	v_cndmask_b32_e64 v4, v43, v31, s[24:25]
	v_lshrrev_b32_sdwa v4, s68, v4 dst_sel:DWORD dst_unused:UNUSED_PAD src0_sel:DWORD src1_sel:WORD_0
	v_and_b32_e32 v6, s74, v4
	v_and_b32_e32 v5, 1, v6
	v_add_co_u32_e64 v7, s[24:25], -1, v5
	v_addc_co_u32_e64 v44, s[24:25], 0, -1, s[24:25]
	v_cmp_ne_u32_e64 s[24:25], 0, v5
	v_mul_u32_u24_e32 v4, 5, v6
	v_xor_b32_e32 v5, s25, v44
	v_add_lshl_u32 v42, v23, v4, 2
	v_mov_b32_e32 v4, 0
	v_and_b32_e32 v44, exec_hi, v5
	v_lshlrev_b32_e32 v5, 30, v6
	v_xor_b32_e32 v7, s24, v7
	v_cmp_gt_i64_e64 s[24:25], 0, v[4:5]
	v_not_b32_e32 v5, v5
	v_ashrrev_i32_e32 v5, 31, v5
	v_and_b32_e32 v7, exec_lo, v7
	v_xor_b32_e32 v45, s25, v5
	v_xor_b32_e32 v5, s24, v5
	v_and_b32_e32 v7, v7, v5
	v_lshlrev_b32_e32 v5, 29, v6
	v_cmp_gt_i64_e64 s[24:25], 0, v[4:5]
	v_not_b32_e32 v5, v5
	v_ashrrev_i32_e32 v5, 31, v5
	v_and_b32_e32 v44, v44, v45
	v_xor_b32_e32 v45, s25, v5
	v_xor_b32_e32 v5, s24, v5
	v_and_b32_e32 v7, v7, v5
	v_lshlrev_b32_e32 v5, 28, v6
	v_cmp_gt_i64_e64 s[24:25], 0, v[4:5]
	v_not_b32_e32 v5, v5
	v_ashrrev_i32_e32 v5, 31, v5
	v_and_b32_e32 v44, v44, v45
	;; [unrolled: 8-line block ×5, first 2 shown]
	v_xor_b32_e32 v45, s25, v5
	v_xor_b32_e32 v5, s24, v5
	v_and_b32_e32 v44, v44, v45
	v_and_b32_e32 v45, v7, v5
	v_lshlrev_b32_e32 v5, 24, v6
	v_cmp_gt_i64_e64 s[24:25], 0, v[4:5]
	v_not_b32_e32 v5, v5
	v_ashrrev_i32_e32 v5, 31, v5
	v_xor_b32_e32 v6, s25, v5
	v_xor_b32_e32 v5, s24, v5
	; wave barrier
	ds_read_b32 v51, v42 offset:16
	v_and_b32_e32 v7, v44, v6
	v_and_b32_e32 v6, v45, v5
	v_mbcnt_lo_u32_b32 v5, v6, 0
	v_mbcnt_hi_u32_b32 v52, v7, v5
	v_cmp_eq_u32_e64 s[24:25], 0, v52
	v_cmp_ne_u64_e64 s[26:27], 0, v[6:7]
	s_and_b64 s[26:27], s[26:27], s[24:25]
	; wave barrier
	s_and_saveexec_b64 s[24:25], s[26:27]
	s_cbranch_execz .LBB18_43
; %bb.42:
	v_bcnt_u32_b32 v5, v6, 0
	v_bcnt_u32_b32 v5, v7, v5
	s_waitcnt lgkmcnt(0)
	v_add_u32_e32 v5, v51, v5
	ds_write_b32 v42, v5 offset:16
.LBB18_43:
	s_or_b64 exec, exec, s[24:25]
	v_cmp_lt_i16_e64 s[24:25], -1, v26
	v_cndmask_b32_e64 v5, -1, v43, s[24:25]
	v_xor_b32_e32 v26, v5, v26
	v_cmp_ne_u16_e64 s[24:25], s28, v26
	v_cndmask_b32_e64 v5, v43, v26, s[24:25]
	v_lshrrev_b32_sdwa v5, s68, v5 dst_sel:DWORD dst_unused:UNUSED_PAD src0_sel:DWORD src1_sel:WORD_0
	v_and_b32_e32 v6, s74, v5
	v_mul_u32_u24_e32 v5, 5, v6
	v_add_lshl_u32 v43, v23, v5, 2
	v_and_b32_e32 v5, 1, v6
	v_add_co_u32_e64 v7, s[24:25], -1, v5
	v_addc_co_u32_e64 v44, s[24:25], 0, -1, s[24:25]
	v_cmp_ne_u32_e64 s[24:25], 0, v5
	v_xor_b32_e32 v5, s25, v44
	v_and_b32_e32 v44, exec_hi, v5
	v_lshlrev_b32_e32 v5, 30, v6
	v_xor_b32_e32 v7, s24, v7
	v_cmp_gt_i64_e64 s[24:25], 0, v[4:5]
	v_not_b32_e32 v5, v5
	v_ashrrev_i32_e32 v5, 31, v5
	v_and_b32_e32 v7, exec_lo, v7
	v_xor_b32_e32 v45, s25, v5
	v_xor_b32_e32 v5, s24, v5
	v_and_b32_e32 v7, v7, v5
	v_lshlrev_b32_e32 v5, 29, v6
	v_cmp_gt_i64_e64 s[24:25], 0, v[4:5]
	v_not_b32_e32 v5, v5
	v_ashrrev_i32_e32 v5, 31, v5
	v_and_b32_e32 v44, v44, v45
	v_xor_b32_e32 v45, s25, v5
	v_xor_b32_e32 v5, s24, v5
	v_and_b32_e32 v7, v7, v5
	v_lshlrev_b32_e32 v5, 28, v6
	v_cmp_gt_i64_e64 s[24:25], 0, v[4:5]
	v_not_b32_e32 v5, v5
	v_ashrrev_i32_e32 v5, 31, v5
	v_and_b32_e32 v44, v44, v45
	;; [unrolled: 8-line block ×5, first 2 shown]
	v_xor_b32_e32 v45, s25, v5
	v_xor_b32_e32 v5, s24, v5
	v_and_b32_e32 v7, v7, v5
	v_lshlrev_b32_e32 v5, 24, v6
	v_cmp_gt_i64_e64 s[24:25], 0, v[4:5]
	v_not_b32_e32 v4, v5
	v_ashrrev_i32_e32 v4, 31, v4
	v_xor_b32_e32 v5, s25, v4
	v_xor_b32_e32 v4, s24, v4
	; wave barrier
	ds_read_b32 v53, v43 offset:16
	v_and_b32_e32 v44, v44, v45
	v_and_b32_e32 v4, v7, v4
	;; [unrolled: 1-line block ×3, first 2 shown]
	v_mbcnt_lo_u32_b32 v6, v4, 0
	v_mbcnt_hi_u32_b32 v54, v5, v6
	v_cmp_eq_u32_e64 s[24:25], 0, v54
	v_cmp_ne_u64_e64 s[26:27], 0, v[4:5]
	s_and_b64 s[26:27], s[26:27], s[24:25]
	; wave barrier
	s_and_saveexec_b64 s[24:25], s[26:27]
	s_cbranch_execz .LBB18_45
; %bb.44:
	v_bcnt_u32_b32 v4, v4, 0
	v_bcnt_u32_b32 v4, v5, v4
	s_waitcnt lgkmcnt(0)
	v_add_u32_e32 v4, v53, v4
	ds_write_b32 v43, v4 offset:16
.LBB18_45:
	s_or_b64 exec, exec, s[24:25]
	v_mov_b32_e32 v45, 0xffff8000
	v_cmp_lt_i16_e64 s[24:25], -1, v21
	v_cndmask_b32_e64 v4, -1, v45, s[24:25]
	v_xor_b32_e32 v21, v4, v21
	v_cmp_ne_u16_e64 s[24:25], s28, v21
	v_cndmask_b32_e64 v4, v45, v21, s[24:25]
	v_lshrrev_b32_sdwa v4, s68, v4 dst_sel:DWORD dst_unused:UNUSED_PAD src0_sel:DWORD src1_sel:WORD_0
	v_and_b32_e32 v6, s74, v4
	v_and_b32_e32 v5, 1, v6
	v_add_co_u32_e64 v7, s[24:25], -1, v5
	v_addc_co_u32_e64 v56, s[24:25], 0, -1, s[24:25]
	v_cmp_ne_u32_e64 s[24:25], 0, v5
	v_mul_u32_u24_e32 v4, 5, v6
	v_xor_b32_e32 v5, s25, v56
	v_add_lshl_u32 v44, v23, v4, 2
	v_mov_b32_e32 v4, 0
	v_and_b32_e32 v56, exec_hi, v5
	v_lshlrev_b32_e32 v5, 30, v6
	v_xor_b32_e32 v7, s24, v7
	v_cmp_gt_i64_e64 s[24:25], 0, v[4:5]
	v_not_b32_e32 v5, v5
	v_ashrrev_i32_e32 v5, 31, v5
	v_and_b32_e32 v7, exec_lo, v7
	v_xor_b32_e32 v57, s25, v5
	v_xor_b32_e32 v5, s24, v5
	v_and_b32_e32 v7, v7, v5
	v_lshlrev_b32_e32 v5, 29, v6
	v_cmp_gt_i64_e64 s[24:25], 0, v[4:5]
	v_not_b32_e32 v5, v5
	v_ashrrev_i32_e32 v5, 31, v5
	v_and_b32_e32 v56, v56, v57
	v_xor_b32_e32 v57, s25, v5
	v_xor_b32_e32 v5, s24, v5
	v_and_b32_e32 v7, v7, v5
	v_lshlrev_b32_e32 v5, 28, v6
	v_cmp_gt_i64_e64 s[24:25], 0, v[4:5]
	v_not_b32_e32 v5, v5
	v_ashrrev_i32_e32 v5, 31, v5
	v_and_b32_e32 v56, v56, v57
	;; [unrolled: 8-line block ×5, first 2 shown]
	v_xor_b32_e32 v57, s25, v5
	v_xor_b32_e32 v5, s24, v5
	v_and_b32_e32 v56, v56, v57
	v_and_b32_e32 v57, v7, v5
	v_lshlrev_b32_e32 v5, 24, v6
	v_cmp_gt_i64_e64 s[24:25], 0, v[4:5]
	v_not_b32_e32 v5, v5
	v_ashrrev_i32_e32 v5, 31, v5
	v_xor_b32_e32 v6, s25, v5
	v_xor_b32_e32 v5, s24, v5
	; wave barrier
	ds_read_b32 v55, v44 offset:16
	v_and_b32_e32 v7, v56, v6
	v_and_b32_e32 v6, v57, v5
	v_mbcnt_lo_u32_b32 v5, v6, 0
	v_mbcnt_hi_u32_b32 v56, v7, v5
	v_cmp_eq_u32_e64 s[24:25], 0, v56
	v_cmp_ne_u64_e64 s[26:27], 0, v[6:7]
	s_and_b64 s[26:27], s[26:27], s[24:25]
	; wave barrier
	s_and_saveexec_b64 s[24:25], s[26:27]
	s_cbranch_execz .LBB18_47
; %bb.46:
	v_bcnt_u32_b32 v5, v6, 0
	v_bcnt_u32_b32 v5, v7, v5
	s_waitcnt lgkmcnt(0)
	v_add_u32_e32 v5, v55, v5
	ds_write_b32 v44, v5 offset:16
.LBB18_47:
	s_or_b64 exec, exec, s[24:25]
	v_cmp_lt_i16_e64 s[24:25], -1, v16
	v_cndmask_b32_e64 v5, -1, v45, s[24:25]
	v_xor_b32_e32 v16, v5, v16
	v_cmp_ne_u16_e64 s[24:25], s28, v16
	v_cndmask_b32_e64 v5, v45, v16, s[24:25]
	v_lshrrev_b32_sdwa v5, s68, v5 dst_sel:DWORD dst_unused:UNUSED_PAD src0_sel:DWORD src1_sel:WORD_0
	v_and_b32_e32 v6, s74, v5
	v_mul_u32_u24_e32 v5, 5, v6
	v_add_lshl_u32 v45, v5, v23, 2
	v_and_b32_e32 v5, 1, v6
	v_add_co_u32_e64 v7, s[24:25], -1, v5
	v_addc_co_u32_e64 v58, s[24:25], 0, -1, s[24:25]
	v_cmp_ne_u32_e64 s[24:25], 0, v5
	v_xor_b32_e32 v5, s25, v58
	v_and_b32_e32 v58, exec_hi, v5
	v_lshlrev_b32_e32 v5, 30, v6
	v_xor_b32_e32 v7, s24, v7
	v_cmp_gt_i64_e64 s[24:25], 0, v[4:5]
	v_not_b32_e32 v5, v5
	v_ashrrev_i32_e32 v5, 31, v5
	v_and_b32_e32 v7, exec_lo, v7
	v_xor_b32_e32 v59, s25, v5
	v_xor_b32_e32 v5, s24, v5
	v_and_b32_e32 v7, v7, v5
	v_lshlrev_b32_e32 v5, 29, v6
	v_cmp_gt_i64_e64 s[24:25], 0, v[4:5]
	v_not_b32_e32 v5, v5
	v_ashrrev_i32_e32 v5, 31, v5
	v_and_b32_e32 v58, v58, v59
	v_xor_b32_e32 v59, s25, v5
	v_xor_b32_e32 v5, s24, v5
	v_and_b32_e32 v7, v7, v5
	v_lshlrev_b32_e32 v5, 28, v6
	v_cmp_gt_i64_e64 s[24:25], 0, v[4:5]
	v_not_b32_e32 v5, v5
	v_ashrrev_i32_e32 v5, 31, v5
	v_and_b32_e32 v58, v58, v59
	;; [unrolled: 8-line block ×5, first 2 shown]
	v_xor_b32_e32 v59, s25, v5
	v_xor_b32_e32 v5, s24, v5
	v_and_b32_e32 v7, v7, v5
	v_lshlrev_b32_e32 v5, 24, v6
	v_cmp_gt_i64_e64 s[24:25], 0, v[4:5]
	v_not_b32_e32 v4, v5
	v_ashrrev_i32_e32 v4, 31, v4
	v_xor_b32_e32 v5, s25, v4
	v_xor_b32_e32 v4, s24, v4
	; wave barrier
	ds_read_b32 v23, v45 offset:16
	v_and_b32_e32 v58, v58, v59
	v_and_b32_e32 v4, v7, v4
	;; [unrolled: 1-line block ×3, first 2 shown]
	v_mbcnt_lo_u32_b32 v6, v4, 0
	v_mbcnt_hi_u32_b32 v58, v5, v6
	v_cmp_eq_u32_e64 s[24:25], 0, v58
	v_cmp_ne_u64_e64 s[26:27], 0, v[4:5]
	v_add_u32_e32 v57, 16, v9
	s_and_b64 s[26:27], s[26:27], s[24:25]
	; wave barrier
	s_and_saveexec_b64 s[24:25], s[26:27]
	s_cbranch_execz .LBB18_49
; %bb.48:
	v_bcnt_u32_b32 v4, v4, 0
	v_bcnt_u32_b32 v4, v5, v4
	s_waitcnt lgkmcnt(0)
	v_add_u32_e32 v4, v23, v4
	ds_write_b32 v45, v4 offset:16
.LBB18_49:
	s_or_b64 exec, exec, s[24:25]
	; wave barrier
	s_waitcnt lgkmcnt(0)
	s_barrier
	ds_read2_b32 v[6:7], v9 offset0:4 offset1:5
	ds_read2_b32 v[4:5], v57 offset0:2 offset1:3
	ds_read_b32 v59, v57 offset:16
	v_min_u32_e32 v3, 0xc0, v3
	v_or_b32_e32 v3, 63, v3
	s_waitcnt lgkmcnt(1)
	v_add3_u32 v60, v7, v6, v4
	s_waitcnt lgkmcnt(0)
	v_add3_u32 v59, v60, v5, v59
	v_and_b32_e32 v60, 15, v13
	v_cmp_ne_u32_e64 s[24:25], 0, v60
	v_mov_b32_dpp v61, v59 row_shr:1 row_mask:0xf bank_mask:0xf
	v_cndmask_b32_e64 v61, 0, v61, s[24:25]
	v_add_u32_e32 v59, v61, v59
	v_cmp_lt_u32_e64 s[24:25], 1, v60
	s_nop 0
	v_mov_b32_dpp v61, v59 row_shr:2 row_mask:0xf bank_mask:0xf
	v_cndmask_b32_e64 v61, 0, v61, s[24:25]
	v_add_u32_e32 v59, v59, v61
	v_cmp_lt_u32_e64 s[24:25], 3, v60
	s_nop 0
	;; [unrolled: 5-line block ×3, first 2 shown]
	v_mov_b32_dpp v61, v59 row_shr:8 row_mask:0xf bank_mask:0xf
	v_cndmask_b32_e64 v60, 0, v61, s[24:25]
	v_add_u32_e32 v59, v59, v60
	v_bfe_i32 v61, v13, 4, 1
	v_cmp_lt_u32_e64 s[24:25], 31, v13
	v_mov_b32_dpp v60, v59 row_bcast:15 row_mask:0xf bank_mask:0xf
	v_and_b32_e32 v60, v61, v60
	v_add_u32_e32 v59, v59, v60
	s_nop 1
	v_mov_b32_dpp v60, v59 row_bcast:31 row_mask:0xf bank_mask:0xf
	v_cndmask_b32_e64 v60, 0, v60, s[24:25]
	v_add_u32_e32 v59, v59, v60
	v_lshrrev_b32_e32 v60, 6, v2
	v_cmp_eq_u32_e64 s[24:25], v3, v2
	s_and_saveexec_b64 s[26:27], s[24:25]
	s_cbranch_execz .LBB18_51
; %bb.50:
	v_lshlrev_b32_e32 v3, 2, v60
	ds_write_b32 v3, v59
.LBB18_51:
	s_or_b64 exec, exec, s[26:27]
	v_cmp_gt_u32_e64 s[24:25], 4, v2
	s_waitcnt lgkmcnt(0)
	s_barrier
	s_and_saveexec_b64 s[26:27], s[24:25]
	s_cbranch_execz .LBB18_53
; %bb.52:
	v_lshlrev_b32_e32 v3, 2, v2
	ds_read_b32 v61, v3
	v_and_b32_e32 v62, 3, v13
	v_cmp_ne_u32_e64 s[24:25], 0, v62
	s_waitcnt lgkmcnt(0)
	v_mov_b32_dpp v63, v61 row_shr:1 row_mask:0xf bank_mask:0xf
	v_cndmask_b32_e64 v63, 0, v63, s[24:25]
	v_add_u32_e32 v61, v63, v61
	v_cmp_lt_u32_e64 s[24:25], 1, v62
	s_nop 0
	v_mov_b32_dpp v63, v61 row_shr:2 row_mask:0xf bank_mask:0xf
	v_cndmask_b32_e64 v62, 0, v63, s[24:25]
	v_add_u32_e32 v61, v61, v62
	ds_write_b32 v3, v61
.LBB18_53:
	s_or_b64 exec, exec, s[26:27]
	v_cmp_lt_u32_e64 s[24:25], 63, v2
	v_mov_b32_e32 v3, 0
	s_waitcnt lgkmcnt(0)
	s_barrier
	s_and_saveexec_b64 s[26:27], s[24:25]
	s_cbranch_execz .LBB18_55
; %bb.54:
	v_lshl_add_u32 v3, v60, 2, -4
	ds_read_b32 v3, v3
.LBB18_55:
	s_or_b64 exec, exec, s[26:27]
	v_add_u32_e32 v60, -1, v13
	v_and_b32_e32 v61, 64, v13
	v_cmp_lt_i32_e64 s[24:25], v60, v61
	v_cndmask_b32_e64 v60, v60, v13, s[24:25]
	s_waitcnt lgkmcnt(0)
	v_add_u32_e32 v59, v3, v59
	v_lshlrev_b32_e32 v60, 2, v60
	ds_bpermute_b32 v59, v60, v59
	v_cmp_eq_u32_e64 s[24:25], 0, v13
	s_waitcnt lgkmcnt(0)
	v_cndmask_b32_e64 v3, v59, v3, s[24:25]
	v_cmp_ne_u32_e64 s[24:25], 0, v2
	v_cndmask_b32_e64 v3, 0, v3, s[24:25]
	v_add_u32_e32 v6, v3, v6
	v_add_u32_e32 v7, v6, v7
	;; [unrolled: 1-line block ×4, first 2 shown]
	ds_write2_b32 v9, v3, v6 offset0:4 offset1:5
	ds_write2_b32 v57, v7, v4 offset0:2 offset1:3
	ds_write_b32 v57, v5 offset:16
	s_waitcnt lgkmcnt(0)
	s_barrier
	ds_read_b32 v5, v17 offset:16
	ds_read_b32 v6, v22 offset:16
	;; [unrolled: 1-line block ×13, first 2 shown]
	v_add_u32_e32 v9, 1, v2
	s_movk_i32 s24, 0x100
	v_cmp_ne_u32_e64 s[24:25], s24, v9
	v_mov_b32_e32 v3, 0xc00
	s_and_saveexec_b64 s[26:27], s[24:25]
	s_cbranch_execz .LBB18_57
; %bb.56:
	v_mul_u32_u24_e32 v3, 5, v9
	v_lshlrev_b32_e32 v3, 2, v3
	ds_read_b32 v3, v3 offset:16
.LBB18_57:
	s_or_b64 exec, exec, s[26:27]
	s_waitcnt lgkmcnt(1)
	v_add_u32_e32 v45, v11, v14
	v_add3_u32 v44, v18, v15, v5
	v_lshlrev_b32_e32 v5, 1, v45
	v_add3_u32 v43, v25, v20, v6
	s_waitcnt lgkmcnt(0)
	s_barrier
	ds_write_b16 v5, v8 offset:2048
	v_lshlrev_b32_e32 v5, 1, v44
	v_add3_u32 v42, v30, v27, v7
	ds_write_b16 v5, v10 offset:2048
	v_lshlrev_b32_e32 v5, 1, v43
	v_add3_u32 v41, v35, v32, v17
	;; [unrolled: 3-line block ×8, first 2 shown]
	ds_write_b16 v5, v31 offset:2048
	v_lshlrev_b32_e32 v5, 1, v36
	v_lshl_add_u32 v6, s6, 8, v2
	v_mov_b32_e32 v7, 0
	v_add3_u32 v34, v58, v23, v60
	ds_write_b16 v5, v26 offset:2048
	v_lshlrev_b32_e32 v5, 1, v35
	v_lshlrev_b64 v[8:9], 2, v[6:7]
	ds_write_b16 v5, v21 offset:2048
	v_lshlrev_b32_e32 v5, 1, v34
	v_sub_u32_e32 v32, v3, v4
	v_mov_b32_e32 v3, s73
	v_add_co_u32_e64 v8, s[24:25], s72, v8
	ds_write_b16 v5, v16 offset:2048
	v_addc_co_u32_e64 v9, s[24:25], v3, v9, s[24:25]
	v_or_b32_e32 v5, 2.0, v32
	s_waitcnt lgkmcnt(0)
	s_barrier
	global_store_dword v[8:9], v5, off
	s_mov_b64 s[26:27], 0
	s_brev_b32 s34, 1
	s_mov_b32 s35, s7
	v_mov_b32_e32 v5, 0
                                        ; implicit-def: $sgpr24_sgpr25
	s_branch .LBB18_59
.LBB18_58:                              ;   in Loop: Header=BB18_59 Depth=1
	s_or_b64 exec, exec, s[28:29]
	v_and_b32_e32 v10, 0x3fffffff, v14
	v_add_u32_e32 v5, v10, v5
	v_cmp_eq_u32_e64 s[24:25], s34, v6
	s_and_b64 s[28:29], exec, s[24:25]
	s_or_b64 s[26:27], s[28:29], s[26:27]
	s_andn2_b64 exec, exec, s[26:27]
	s_cbranch_execz .LBB18_65
.LBB18_59:                              ; =>This Loop Header: Depth=1
                                        ;     Child Loop BB18_62 Depth 2
	s_or_b64 s[24:25], s[24:25], exec
	s_cmp_eq_u32 s35, 0
	s_cbranch_scc1 .LBB18_64
; %bb.60:                               ;   in Loop: Header=BB18_59 Depth=1
	s_add_i32 s35, s35, -1
	v_lshl_add_u32 v6, s35, 8, v2
	v_lshlrev_b64 v[10:11], 2, v[6:7]
	v_add_co_u32_e64 v10, s[24:25], s72, v10
	v_addc_co_u32_e64 v11, s[24:25], v3, v11, s[24:25]
	global_load_dword v14, v[10:11], off glc
	s_waitcnt vmcnt(0)
	v_and_b32_e32 v6, -2.0, v14
	v_cmp_eq_u32_e64 s[24:25], 0, v6
	s_and_saveexec_b64 s[28:29], s[24:25]
	s_cbranch_execz .LBB18_58
; %bb.61:                               ;   in Loop: Header=BB18_59 Depth=1
	s_mov_b64 s[30:31], 0
.LBB18_62:                              ;   Parent Loop BB18_59 Depth=1
                                        ; =>  This Inner Loop Header: Depth=2
	global_load_dword v14, v[10:11], off glc
	s_waitcnt vmcnt(0)
	v_and_b32_e32 v6, -2.0, v14
	v_cmp_ne_u32_e64 s[24:25], 0, v6
	s_or_b64 s[30:31], s[24:25], s[30:31]
	s_andn2_b64 exec, exec, s[30:31]
	s_cbranch_execnz .LBB18_62
; %bb.63:                               ;   in Loop: Header=BB18_59 Depth=1
	s_or_b64 exec, exec, s[30:31]
	s_branch .LBB18_58
.LBB18_64:                              ;   in Loop: Header=BB18_59 Depth=1
                                        ; implicit-def: $sgpr35
	s_and_b64 s[28:29], exec, s[24:25]
	s_or_b64 s[26:27], s[28:29], s[26:27]
	s_andn2_b64 exec, exec, s[26:27]
	s_cbranch_execnz .LBB18_59
.LBB18_65:
	s_or_b64 exec, exec, s[26:27]
	v_add_u32_e32 v3, v5, v32
	v_or_b32_e32 v3, 0x80000000, v3
	global_store_dword v[8:9], v3, off
	v_lshlrev_b32_e32 v33, 3, v2
	global_load_dwordx2 v[6:7], v33, s[64:65]
	v_sub_co_u32_e64 v8, s[24:25], v5, v4
	v_subb_co_u32_e64 v9, s[24:25], 0, 0, s[24:25]
	v_mov_b32_e32 v3, 0
	v_mov_b32_e32 v5, v3
	s_waitcnt vmcnt(0)
	v_add_co_u32_e64 v6, s[24:25], v8, v6
	v_addc_co_u32_e64 v7, s[24:25], v9, v7, s[24:25]
	v_cmp_gt_u32_e64 s[24:25], s70, v2
	ds_write_b64 v33, v[6:7]
	s_waitcnt lgkmcnt(0)
	s_barrier
	s_and_saveexec_b64 s[28:29], s[24:25]
	s_cbranch_execz .LBB18_67
; %bb.66:
	v_mad_i32_i24 v6, v2, -6, v33
	ds_read_u16 v8, v6 offset:2048
	s_movk_i32 s26, 0x7fff
	v_mov_b32_e32 v9, 0xffff8000
	v_mov_b32_e32 v10, s59
	s_waitcnt lgkmcnt(0)
	v_cmp_ne_u16_e64 s[26:27], s26, v8
	v_cndmask_b32_e64 v6, v9, v8, s[26:27]
	v_lshrrev_b32_sdwa v6, s68, v6 dst_sel:DWORD dst_unused:UNUSED_PAD src0_sel:DWORD src1_sel:WORD_0
	v_and_b32_e32 v6, s74, v6
	v_lshlrev_b32_e32 v6, 3, v6
	ds_read_b64 v[6:7], v6
	v_cmp_lt_i16_e64 s[26:27], -1, v8
	v_cndmask_b32_e64 v9, v9, -1, s[26:27]
	v_xor_b32_e32 v8, v9, v8
	v_lshlrev_b32_e32 v9, 1, v2
	s_waitcnt lgkmcnt(0)
	v_lshlrev_b64 v[6:7], 1, v[6:7]
	v_add_co_u32_e64 v6, s[26:27], s58, v6
	v_addc_co_u32_e64 v7, s[26:27], v10, v7, s[26:27]
	v_add_co_u32_e64 v6, s[26:27], v6, v9
	v_addc_co_u32_e64 v7, s[26:27], 0, v7, s[26:27]
	global_store_short v[6:7], v8, off
.LBB18_67:
	s_or_b64 exec, exec, s[28:29]
	v_add_u32_e32 v6, 0x100, v2
	v_cmp_gt_u32_e64 s[26:27], s70, v6
	s_and_saveexec_b64 s[30:31], s[26:27]
	s_cbranch_execz .LBB18_69
; %bb.68:
	v_lshlrev_b32_e32 v8, 1, v2
	ds_read_u16 v9, v8 offset:2560
	s_movk_i32 s28, 0x7fff
	v_mov_b32_e32 v10, 0xffff8000
	v_mov_b32_e32 v11, s59
	s_waitcnt lgkmcnt(0)
	v_cmp_ne_u16_e64 s[28:29], s28, v9
	v_cndmask_b32_e64 v6, v10, v9, s[28:29]
	v_lshrrev_b32_sdwa v6, s68, v6 dst_sel:DWORD dst_unused:UNUSED_PAD src0_sel:DWORD src1_sel:WORD_0
	v_and_b32_e32 v6, s74, v6
	v_lshlrev_b32_e32 v6, 3, v6
	ds_read_b64 v[6:7], v6
	v_cmp_lt_i16_e64 s[28:29], -1, v9
	v_cndmask_b32_e64 v10, v10, -1, s[28:29]
	v_xor_b32_e32 v9, v10, v9
	s_waitcnt lgkmcnt(0)
	v_lshlrev_b64 v[6:7], 1, v[6:7]
	v_add_co_u32_e64 v6, s[28:29], s58, v6
	v_addc_co_u32_e64 v7, s[28:29], v11, v7, s[28:29]
	v_add_co_u32_e64 v6, s[28:29], v6, v8
	v_addc_co_u32_e64 v7, s[28:29], 0, v7, s[28:29]
	global_store_short v[6:7], v9, off offset:512
.LBB18_69:
	s_or_b64 exec, exec, s[30:31]
	v_add_u32_e32 v46, 0x200, v2
	v_cmp_gt_u32_e64 s[28:29], s70, v46
	s_and_saveexec_b64 s[34:35], s[28:29]
	s_cbranch_execz .LBB18_71
; %bb.70:
	v_lshlrev_b32_e32 v8, 1, v2
	ds_read_u16 v9, v8 offset:3072
	s_movk_i32 s30, 0x7fff
	v_mov_b32_e32 v10, 0xffff8000
	v_mov_b32_e32 v11, s59
	s_waitcnt lgkmcnt(0)
	v_cmp_ne_u16_e64 s[30:31], s30, v9
	v_cndmask_b32_e64 v6, v10, v9, s[30:31]
	v_lshrrev_b32_sdwa v6, s68, v6 dst_sel:DWORD dst_unused:UNUSED_PAD src0_sel:DWORD src1_sel:WORD_0
	v_and_b32_e32 v6, s74, v6
	v_lshlrev_b32_e32 v6, 3, v6
	ds_read_b64 v[6:7], v6
	v_cmp_lt_i16_e64 s[30:31], -1, v9
	v_cndmask_b32_e64 v10, v10, -1, s[30:31]
	v_xor_b32_e32 v9, v10, v9
	s_waitcnt lgkmcnt(0)
	v_lshlrev_b64 v[6:7], 1, v[6:7]
	v_add_co_u32_e64 v6, s[30:31], s58, v6
	v_addc_co_u32_e64 v7, s[30:31], v11, v7, s[30:31]
	v_add_co_u32_e64 v6, s[30:31], v6, v8
	v_addc_co_u32_e64 v7, s[30:31], 0, v7, s[30:31]
	global_store_short v[6:7], v9, off offset:1024
.LBB18_71:
	;; [unrolled: 29-line block ×3, first 2 shown]
	s_or_b64 exec, exec, s[36:37]
	v_or_b32_e32 v48, 0x400, v2
	v_cmp_gt_u32_e64 s[34:35], s70, v48
	s_and_saveexec_b64 s[38:39], s[34:35]
	s_cbranch_execz .LBB18_75
; %bb.74:
	v_lshlrev_b32_e32 v8, 1, v2
	ds_read_u16 v9, v8 offset:4096
	s_movk_i32 s36, 0x7fff
	v_mov_b32_e32 v10, 0xffff8000
	v_mov_b32_e32 v11, s59
	s_waitcnt lgkmcnt(0)
	v_cmp_ne_u16_e64 s[36:37], s36, v9
	v_cndmask_b32_e64 v6, v10, v9, s[36:37]
	v_lshrrev_b32_sdwa v6, s68, v6 dst_sel:DWORD dst_unused:UNUSED_PAD src0_sel:DWORD src1_sel:WORD_0
	v_and_b32_e32 v6, s74, v6
	v_lshlrev_b32_e32 v6, 3, v6
	ds_read_b64 v[6:7], v6
	v_cmp_lt_i16_e64 s[36:37], -1, v9
	v_cndmask_b32_e64 v10, v10, -1, s[36:37]
	v_xor_b32_e32 v9, v10, v9
	s_waitcnt lgkmcnt(0)
	v_lshlrev_b64 v[6:7], 1, v[6:7]
	v_add_co_u32_e64 v6, s[36:37], s58, v6
	v_addc_co_u32_e64 v7, s[36:37], v11, v7, s[36:37]
	v_add_co_u32_e64 v6, s[36:37], v6, v8
	v_addc_co_u32_e64 v7, s[36:37], 0, v7, s[36:37]
	global_store_short v[6:7], v9, off offset:2048
.LBB18_75:
	s_or_b64 exec, exec, s[38:39]
	v_add_u32_e32 v49, 0x500, v2
	v_cmp_gt_u32_e64 s[36:37], s70, v49
	s_and_saveexec_b64 s[40:41], s[36:37]
	s_cbranch_execz .LBB18_77
; %bb.76:
	v_lshlrev_b32_e32 v8, 1, v2
	ds_read_u16 v9, v8 offset:4608
	s_movk_i32 s38, 0x7fff
	v_mov_b32_e32 v10, 0xffff8000
	v_mov_b32_e32 v11, s59
	s_waitcnt lgkmcnt(0)
	v_cmp_ne_u16_e64 s[38:39], s38, v9
	v_cndmask_b32_e64 v6, v10, v9, s[38:39]
	v_lshrrev_b32_sdwa v6, s68, v6 dst_sel:DWORD dst_unused:UNUSED_PAD src0_sel:DWORD src1_sel:WORD_0
	v_and_b32_e32 v6, s74, v6
	v_lshlrev_b32_e32 v6, 3, v6
	ds_read_b64 v[6:7], v6
	v_cmp_lt_i16_e64 s[38:39], -1, v9
	v_cndmask_b32_e64 v10, v10, -1, s[38:39]
	v_xor_b32_e32 v9, v10, v9
	s_waitcnt lgkmcnt(0)
	v_lshlrev_b64 v[6:7], 1, v[6:7]
	v_add_co_u32_e64 v6, s[38:39], s58, v6
	v_addc_co_u32_e64 v7, s[38:39], v11, v7, s[38:39]
	v_add_co_u32_e64 v6, s[38:39], v6, v8
	v_addc_co_u32_e64 v7, s[38:39], 0, v7, s[38:39]
	global_store_short v[6:7], v9, off offset:2560
.LBB18_77:
	s_or_b64 exec, exec, s[40:41]
	v_add_u32_e32 v50, 0x600, v2
	;; [unrolled: 29-line block ×3, first 2 shown]
	v_cmp_gt_u32_e64 s[40:41], s70, v51
	s_and_saveexec_b64 s[44:45], s[40:41]
	s_cbranch_execz .LBB18_81
; %bb.80:
	v_lshlrev_b32_e32 v8, 1, v2
	ds_read_u16 v9, v8 offset:5632
	s_movk_i32 s42, 0x7fff
	v_mov_b32_e32 v10, 0xffff8000
	v_mov_b32_e32 v11, s59
	s_waitcnt lgkmcnt(0)
	v_cmp_ne_u16_e64 s[42:43], s42, v9
	v_cndmask_b32_e64 v6, v10, v9, s[42:43]
	v_lshrrev_b32_sdwa v6, s68, v6 dst_sel:DWORD dst_unused:UNUSED_PAD src0_sel:DWORD src1_sel:WORD_0
	v_and_b32_e32 v6, s74, v6
	v_lshlrev_b32_e32 v6, 3, v6
	ds_read_b64 v[6:7], v6
	v_cmp_lt_i16_e64 s[42:43], -1, v9
	v_cndmask_b32_e64 v10, v10, -1, s[42:43]
	v_xor_b32_e32 v9, v10, v9
	s_waitcnt lgkmcnt(0)
	v_lshlrev_b64 v[6:7], 1, v[6:7]
	v_add_co_u32_e64 v6, s[42:43], s58, v6
	v_addc_co_u32_e64 v7, s[42:43], v11, v7, s[42:43]
	v_add_co_u32_e64 v6, s[42:43], v6, v8
	v_addc_co_u32_e64 v7, s[42:43], 0, v7, s[42:43]
	global_store_short v[6:7], v9, off offset:3584
.LBB18_81:
	s_or_b64 exec, exec, s[44:45]
	v_or_b32_e32 v52, 0x800, v2
	v_cmp_gt_u32_e64 s[42:43], s70, v52
	s_and_saveexec_b64 s[46:47], s[42:43]
	s_cbranch_execz .LBB18_83
; %bb.82:
	v_lshlrev_b32_e32 v6, 1, v2
	ds_read_u16 v8, v6 offset:6144
	s_movk_i32 s44, 0x7fff
	v_mov_b32_e32 v9, 0xffff8000
	v_mov_b32_e32 v10, s59
	s_waitcnt lgkmcnt(0)
	v_cmp_ne_u16_e64 s[44:45], s44, v8
	v_cndmask_b32_e64 v6, v9, v8, s[44:45]
	v_lshrrev_b32_sdwa v6, s68, v6 dst_sel:DWORD dst_unused:UNUSED_PAD src0_sel:DWORD src1_sel:WORD_0
	v_and_b32_e32 v6, s74, v6
	v_lshlrev_b32_e32 v6, 3, v6
	ds_read_b64 v[6:7], v6
	v_cmp_lt_i16_e64 s[44:45], -1, v8
	v_cndmask_b32_e64 v9, v9, -1, s[44:45]
	v_xor_b32_e32 v8, v9, v8
	v_lshlrev_b32_e32 v9, 1, v52
	s_waitcnt lgkmcnt(0)
	v_lshlrev_b64 v[6:7], 1, v[6:7]
	v_add_co_u32_e64 v6, s[44:45], s58, v6
	v_addc_co_u32_e64 v7, s[44:45], v10, v7, s[44:45]
	v_add_co_u32_e64 v6, s[44:45], v6, v9
	v_addc_co_u32_e64 v7, s[44:45], 0, v7, s[44:45]
	global_store_short v[6:7], v8, off
.LBB18_83:
	s_or_b64 exec, exec, s[46:47]
	v_add_u32_e32 v53, 0x900, v2
	v_cmp_gt_u32_e64 s[44:45], s70, v53
	s_and_saveexec_b64 s[48:49], s[44:45]
	s_cbranch_execz .LBB18_85
; %bb.84:
	v_lshlrev_b32_e32 v6, 1, v2
	ds_read_u16 v8, v6 offset:6656
	s_movk_i32 s46, 0x7fff
	v_mov_b32_e32 v9, 0xffff8000
	v_mov_b32_e32 v10, s59
	s_waitcnt lgkmcnt(0)
	v_cmp_ne_u16_e64 s[46:47], s46, v8
	v_cndmask_b32_e64 v6, v9, v8, s[46:47]
	v_lshrrev_b32_sdwa v6, s68, v6 dst_sel:DWORD dst_unused:UNUSED_PAD src0_sel:DWORD src1_sel:WORD_0
	v_and_b32_e32 v6, s74, v6
	v_lshlrev_b32_e32 v6, 3, v6
	ds_read_b64 v[6:7], v6
	v_cmp_lt_i16_e64 s[46:47], -1, v8
	v_cndmask_b32_e64 v9, v9, -1, s[46:47]
	v_xor_b32_e32 v8, v9, v8
	v_lshlrev_b32_e32 v9, 1, v53
	s_waitcnt lgkmcnt(0)
	v_lshlrev_b64 v[6:7], 1, v[6:7]
	v_add_co_u32_e64 v6, s[46:47], s58, v6
	v_addc_co_u32_e64 v7, s[46:47], v10, v7, s[46:47]
	v_add_co_u32_e64 v6, s[46:47], v6, v9
	v_addc_co_u32_e64 v7, s[46:47], 0, v7, s[46:47]
	global_store_short v[6:7], v8, off
.LBB18_85:
	s_or_b64 exec, exec, s[48:49]
	v_add_u32_e32 v54, 0xa00, v2
	;; [unrolled: 30-line block ×3, first 2 shown]
	v_cmp_gt_u32_e64 s[48:49], s70, v55
	s_and_saveexec_b64 s[70:71], s[48:49]
	s_cbranch_execz .LBB18_89
; %bb.88:
	v_lshlrev_b32_e32 v6, 1, v2
	ds_read_u16 v8, v6 offset:7680
	s_movk_i32 s52, 0x7fff
	v_mov_b32_e32 v9, 0xffff8000
	v_mov_b32_e32 v10, s59
	s_waitcnt lgkmcnt(0)
	v_cmp_ne_u16_e64 s[52:53], s52, v8
	v_cndmask_b32_e64 v6, v9, v8, s[52:53]
	v_lshrrev_b32_sdwa v6, s68, v6 dst_sel:DWORD dst_unused:UNUSED_PAD src0_sel:DWORD src1_sel:WORD_0
	v_and_b32_e32 v6, s74, v6
	v_lshlrev_b32_e32 v6, 3, v6
	ds_read_b64 v[6:7], v6
	v_cmp_lt_i16_e64 s[52:53], -1, v8
	v_cndmask_b32_e64 v9, v9, -1, s[52:53]
	v_xor_b32_e32 v8, v9, v8
	v_lshlrev_b32_e32 v9, 1, v55
	s_waitcnt lgkmcnt(0)
	v_lshlrev_b64 v[6:7], 1, v[6:7]
	v_add_co_u32_e64 v6, s[52:53], s58, v6
	v_addc_co_u32_e64 v7, s[52:53], v10, v7, s[52:53]
	v_add_co_u32_e64 v6, s[52:53], v6, v9
	v_addc_co_u32_e64 v7, s[52:53], 0, v7, s[52:53]
	global_store_short v[6:7], v8, off
.LBB18_89:
	s_or_b64 exec, exec, s[70:71]
	s_lshl_b64 s[52:53], s[54:55], 3
	s_add_u32 s52, s60, s52
	s_addc_u32 s53, s61, s53
	v_lshlrev_b32_e32 v6, 3, v13
	v_mov_b32_e32 v7, s53
	v_add_co_u32_e64 v6, s[52:53], s52, v6
	v_addc_co_u32_e64 v7, s[52:53], 0, v7, s[52:53]
	v_lshlrev_b32_e32 v8, 3, v12
	v_add_co_u32_e64 v30, s[52:53], v6, v8
	v_addc_co_u32_e64 v31, s[52:53], 0, v7, s[52:53]
                                        ; implicit-def: $vgpr6_vgpr7
	s_and_saveexec_b64 s[52:53], vcc
	s_xor_b64 s[52:53], exec, s[52:53]
	s_cbranch_execnz .LBB18_174
; %bb.90:
	s_or_b64 exec, exec, s[52:53]
                                        ; implicit-def: $vgpr8_vgpr9
	s_and_saveexec_b64 s[52:53], s[0:1]
	s_cbranch_execnz .LBB18_175
.LBB18_91:
	s_or_b64 exec, exec, s[52:53]
                                        ; implicit-def: $vgpr10_vgpr11
	s_and_saveexec_b64 s[0:1], s[2:3]
	s_cbranch_execnz .LBB18_176
.LBB18_92:
	s_or_b64 exec, exec, s[0:1]
                                        ; implicit-def: $vgpr12_vgpr13
	s_and_saveexec_b64 s[0:1], s[50:51]
	s_cbranch_execnz .LBB18_177
.LBB18_93:
	s_or_b64 exec, exec, s[0:1]
                                        ; implicit-def: $vgpr14_vgpr15
	s_and_saveexec_b64 s[0:1], s[8:9]
	s_cbranch_execnz .LBB18_178
.LBB18_94:
	s_or_b64 exec, exec, s[0:1]
                                        ; implicit-def: $vgpr16_vgpr17
	s_and_saveexec_b64 s[0:1], s[12:13]
	s_cbranch_execnz .LBB18_179
.LBB18_95:
	s_or_b64 exec, exec, s[0:1]
                                        ; implicit-def: $vgpr18_vgpr19
	s_and_saveexec_b64 s[0:1], s[16:17]
	s_cbranch_execnz .LBB18_180
.LBB18_96:
	s_or_b64 exec, exec, s[0:1]
                                        ; implicit-def: $vgpr20_vgpr21
	s_and_saveexec_b64 s[0:1], s[20:21]
	s_cbranch_execnz .LBB18_181
.LBB18_97:
	s_or_b64 exec, exec, s[0:1]
                                        ; implicit-def: $vgpr22_vgpr23
	s_and_saveexec_b64 s[0:1], s[22:23]
	s_cbranch_execnz .LBB18_182
.LBB18_98:
	s_or_b64 exec, exec, s[0:1]
                                        ; implicit-def: $vgpr24_vgpr25
	s_and_saveexec_b64 s[0:1], s[18:19]
	s_cbranch_execnz .LBB18_183
.LBB18_99:
	s_or_b64 exec, exec, s[0:1]
                                        ; implicit-def: $vgpr26_vgpr27
	s_and_saveexec_b64 s[0:1], s[14:15]
	s_cbranch_execnz .LBB18_184
.LBB18_100:
	s_or_b64 exec, exec, s[0:1]
                                        ; implicit-def: $vgpr28_vgpr29
	s_and_saveexec_b64 s[0:1], s[10:11]
	s_cbranch_execnz .LBB18_185
.LBB18_101:
	s_or_b64 exec, exec, s[0:1]
                                        ; implicit-def: $vgpr65
	s_and_saveexec_b64 s[0:1], s[24:25]
	s_cbranch_execnz .LBB18_186
.LBB18_102:
	s_or_b64 exec, exec, s[0:1]
                                        ; implicit-def: $vgpr64
	s_and_saveexec_b64 s[0:1], s[26:27]
	s_cbranch_execnz .LBB18_187
.LBB18_103:
	s_or_b64 exec, exec, s[0:1]
                                        ; implicit-def: $vgpr63
	s_and_saveexec_b64 s[0:1], s[28:29]
	s_cbranch_execnz .LBB18_188
.LBB18_104:
	s_or_b64 exec, exec, s[0:1]
                                        ; implicit-def: $vgpr62
	s_and_saveexec_b64 s[0:1], s[30:31]
	s_cbranch_execnz .LBB18_189
.LBB18_105:
	s_or_b64 exec, exec, s[0:1]
                                        ; implicit-def: $vgpr61
	s_and_saveexec_b64 s[0:1], s[34:35]
	s_cbranch_execnz .LBB18_190
.LBB18_106:
	s_or_b64 exec, exec, s[0:1]
                                        ; implicit-def: $vgpr60
	s_and_saveexec_b64 s[0:1], s[36:37]
	s_cbranch_execnz .LBB18_191
.LBB18_107:
	s_or_b64 exec, exec, s[0:1]
                                        ; implicit-def: $vgpr59
	s_and_saveexec_b64 s[0:1], s[38:39]
	s_cbranch_execnz .LBB18_192
.LBB18_108:
	s_or_b64 exec, exec, s[0:1]
                                        ; implicit-def: $vgpr58
	s_and_saveexec_b64 s[0:1], s[40:41]
	s_cbranch_execnz .LBB18_193
.LBB18_109:
	s_or_b64 exec, exec, s[0:1]
                                        ; implicit-def: $vgpr57
	s_and_saveexec_b64 s[0:1], s[42:43]
	s_cbranch_execz .LBB18_111
.LBB18_110:
	v_lshlrev_b32_e32 v30, 1, v2
	ds_read_u16 v30, v30 offset:6144
	s_movk_i32 s2, 0x7fff
	v_mov_b32_e32 v31, 0xffff8000
	s_waitcnt lgkmcnt(0)
	v_cmp_ne_u16_e32 vcc, s2, v30
	v_cndmask_b32_e32 v30, v31, v30, vcc
	v_lshrrev_b32_sdwa v30, s68, v30 dst_sel:DWORD dst_unused:UNUSED_PAD src0_sel:DWORD src1_sel:WORD_0
	v_and_b32_e32 v57, s74, v30
.LBB18_111:
	s_or_b64 exec, exec, s[0:1]
	v_mov_b32_e32 v30, 0
	v_mov_b32_e32 v56, 0
	s_and_saveexec_b64 s[0:1], s[44:45]
	s_cbranch_execnz .LBB18_194
; %bb.112:
	s_or_b64 exec, exec, s[0:1]
	s_and_saveexec_b64 s[0:1], s[46:47]
	s_cbranch_execnz .LBB18_195
.LBB18_113:
	s_or_b64 exec, exec, s[0:1]
	v_mov_b32_e32 v31, 0
	s_and_saveexec_b64 s[0:1], s[48:49]
	s_cbranch_execz .LBB18_115
.LBB18_114:
	v_lshlrev_b32_e32 v31, 1, v2
	ds_read_u16 v31, v31 offset:7680
	s_movk_i32 s2, 0x7fff
	v_mov_b32_e32 v66, 0xffff8000
	s_waitcnt lgkmcnt(0)
	v_cmp_ne_u16_e32 vcc, s2, v31
	v_cndmask_b32_e32 v31, v66, v31, vcc
	v_lshrrev_b32_sdwa v31, s68, v31 dst_sel:DWORD dst_unused:UNUSED_PAD src0_sel:DWORD src1_sel:WORD_0
	v_and_b32_e32 v31, s74, v31
.LBB18_115:
	s_or_b64 exec, exec, s[0:1]
	v_lshlrev_b32_e32 v45, 3, v45
	s_barrier
	s_waitcnt vmcnt(0)
	ds_write_b64 v45, v[6:7] offset:2048
	v_lshlrev_b32_e32 v6, 3, v44
	ds_write_b64 v6, v[8:9] offset:2048
	v_lshlrev_b32_e32 v6, 3, v43
	;; [unrolled: 2-line block ×11, first 2 shown]
	ds_write_b64 v6, v[28:29] offset:2048
	s_waitcnt lgkmcnt(0)
	s_barrier
	s_and_saveexec_b64 s[0:1], s[24:25]
	s_cbranch_execnz .LBB18_196
; %bb.116:
	s_or_b64 exec, exec, s[0:1]
	s_and_saveexec_b64 s[0:1], s[26:27]
	s_cbranch_execnz .LBB18_197
.LBB18_117:
	s_or_b64 exec, exec, s[0:1]
	s_and_saveexec_b64 s[0:1], s[28:29]
	s_cbranch_execnz .LBB18_198
.LBB18_118:
	s_or_b64 exec, exec, s[0:1]
	s_and_saveexec_b64 s[0:1], s[30:31]
	s_cbranch_execnz .LBB18_199
.LBB18_119:
	s_or_b64 exec, exec, s[0:1]
	s_and_saveexec_b64 s[0:1], s[34:35]
	s_cbranch_execnz .LBB18_200
.LBB18_120:
	s_or_b64 exec, exec, s[0:1]
	s_and_saveexec_b64 s[0:1], s[36:37]
	s_cbranch_execnz .LBB18_201
.LBB18_121:
	s_or_b64 exec, exec, s[0:1]
	s_and_saveexec_b64 s[0:1], s[38:39]
	s_cbranch_execnz .LBB18_202
.LBB18_122:
	s_or_b64 exec, exec, s[0:1]
	s_and_saveexec_b64 s[0:1], s[40:41]
	s_cbranch_execnz .LBB18_203
.LBB18_123:
	s_or_b64 exec, exec, s[0:1]
	s_and_saveexec_b64 s[0:1], s[42:43]
	s_cbranch_execnz .LBB18_204
.LBB18_124:
	s_or_b64 exec, exec, s[0:1]
	s_and_saveexec_b64 s[0:1], s[44:45]
	s_cbranch_execnz .LBB18_205
.LBB18_125:
	s_or_b64 exec, exec, s[0:1]
	s_and_saveexec_b64 s[0:1], s[46:47]
	s_cbranch_execnz .LBB18_206
.LBB18_126:
	s_or_b64 exec, exec, s[0:1]
	s_and_saveexec_b64 s[0:1], s[48:49]
	s_cbranch_execz .LBB18_128
.LBB18_127:
	v_lshlrev_b32_e32 v6, 3, v31
	ds_read_b64 v[6:7], v6
	v_lshlrev_b32_e32 v8, 3, v2
	ds_read_b64 v[8:9], v8 offset:24576
	v_mov_b32_e32 v10, s63
	s_waitcnt lgkmcnt(1)
	v_lshlrev_b64 v[6:7], 3, v[6:7]
	v_add_co_u32_e32 v6, vcc, s62, v6
	v_addc_co_u32_e32 v7, vcc, v10, v7, vcc
	v_lshlrev_b32_e32 v10, 3, v55
	v_add_co_u32_e32 v6, vcc, v6, v10
	v_addc_co_u32_e32 v7, vcc, 0, v7, vcc
	s_waitcnt lgkmcnt(0)
	global_store_dwordx2 v[6:7], v[8:9], off
.LBB18_128:
	s_or_b64 exec, exec, s[0:1]
	s_add_i32 s33, s33, -1
	s_cmp_eq_u32 s6, s33
	s_cselect_b64 s[0:1], -1, 0
	s_branch .LBB18_171
.LBB18_129:
	s_mov_b64 s[0:1], 0
                                        ; implicit-def: $vgpr33
                                        ; implicit-def: $vgpr2_vgpr3
                                        ; implicit-def: $vgpr4_vgpr5
                                        ; implicit-def: $vgpr32
	s_cbranch_execz .LBB18_171
; %bb.130:
	s_mov_b32 s55, 0
	s_lshl_b64 s[0:1], s[54:55], 1
	v_mbcnt_hi_u32_b32 v11, -1, v1
	s_add_u32 s0, s56, s0
	v_lshlrev_b32_e32 v1, 1, v11
	v_and_b32_e32 v2, 0x3ff, v0
	v_add_co_u32_e32 v1, vcc, s0, v1
	s_load_dword s8, s[4:5], 0x50
	s_load_dword s0, s[4:5], 0x5c
	s_addc_u32 s1, s57, s1
	v_and_b32_e32 v7, 0xc0, v2
	v_mul_u32_u24_e32 v10, 12, v7
	v_mov_b32_e32 v3, s1
	v_addc_co_u32_e32 v3, vcc, 0, v3, vcc
	v_lshlrev_b32_e32 v5, 1, v10
	v_add_co_u32_e32 v8, vcc, v1, v5
	s_add_u32 s1, s4, 0x50
	v_addc_co_u32_e32 v9, vcc, 0, v3, vcc
	s_addc_u32 s2, s5, 0
	s_waitcnt lgkmcnt(0)
	s_lshr_b32 s3, s0, 16
	global_load_ushort v1, v[8:9], off
	s_cmp_lt_u32 s6, s8
	s_cselect_b32 s0, 12, 18
	s_add_u32 s0, s1, s0
	v_mov_b32_e32 v4, 0
	s_addc_u32 s1, s2, 0
	global_load_ushort v5, v4, s[0:1]
	v_mul_u32_u24_e32 v6, 5, v2
	v_lshlrev_b32_e32 v6, 2, v6
	ds_write2_b32 v6, v4, v4 offset0:4 offset1:5
	ds_write2_b32 v6, v4, v4 offset0:6 offset1:7
	ds_write_b32 v6, v4 offset:32
	global_load_ushort v12, v[8:9], off offset:128
	global_load_ushort v16, v[8:9], off offset:256
	global_load_ushort v21, v[8:9], off offset:384
	global_load_ushort v26, v[8:9], off offset:512
	global_load_ushort v31, v[8:9], off offset:640
	global_load_ushort v36, v[8:9], off offset:768
	global_load_ushort v38, v[8:9], off offset:896
	global_load_ushort v33, v[8:9], off offset:1024
	global_load_ushort v28, v[8:9], off offset:1152
	global_load_ushort v23, v[8:9], off offset:1280
	global_load_ushort v17, v[8:9], off offset:1408
	v_mov_b32_e32 v13, 0xffff8000
	v_bfe_u32 v3, v0, 10, 10
	v_bfe_u32 v0, v0, 20, 10
	v_mad_u32_u24 v0, v0, s3, v3
	s_movk_i32 s2, 0x7fff
	s_lshl_b32 s0, -1, s69
	s_not_b32 s9, s0
	s_waitcnt lgkmcnt(0)
	s_barrier
	s_waitcnt lgkmcnt(0)
	; wave barrier
	s_waitcnt vmcnt(12)
	v_cmp_lt_i16_e32 vcc, -1, v1
	v_cndmask_b32_e32 v3, -1, v13, vcc
	v_xor_b32_e32 v3, v3, v1
	v_cmp_ne_u16_e32 vcc, s2, v3
	v_cndmask_b32_e32 v8, v13, v3, vcc
	s_waitcnt vmcnt(11)
	v_mad_u64_u32 v[0:1], s[0:1], v0, v5, v[2:3]
	v_lshrrev_b32_sdwa v1, s68, v8 dst_sel:DWORD dst_unused:UNUSED_PAD src0_sel:DWORD src1_sel:WORD_0
	v_lshrrev_b32_e32 v18, 6, v0
	v_and_b32_e32 v0, s9, v1
	v_mul_u32_u24_e32 v1, 5, v0
	v_and_b32_e32 v9, 1, v0
	v_add_lshl_u32 v8, v18, v1, 2
	v_add_co_u32_e32 v1, vcc, -1, v9
	v_lshlrev_b32_e32 v5, 30, v0
	v_addc_co_u32_e64 v14, s[0:1], 0, -1, vcc
	v_cmp_ne_u32_e32 vcc, 0, v9
	v_cmp_gt_i64_e64 s[0:1], 0, v[4:5]
	v_not_b32_e32 v9, v5
	v_lshlrev_b32_e32 v5, 29, v0
	v_xor_b32_e32 v14, vcc_hi, v14
	v_xor_b32_e32 v1, vcc_lo, v1
	v_ashrrev_i32_e32 v9, 31, v9
	v_cmp_gt_i64_e32 vcc, 0, v[4:5]
	v_not_b32_e32 v15, v5
	v_lshlrev_b32_e32 v5, 28, v0
	v_and_b32_e32 v14, exec_hi, v14
	v_and_b32_e32 v1, exec_lo, v1
	v_xor_b32_e32 v19, s1, v9
	v_xor_b32_e32 v9, s0, v9
	v_ashrrev_i32_e32 v15, 31, v15
	v_cmp_gt_i64_e64 s[0:1], 0, v[4:5]
	v_not_b32_e32 v5, v5
	v_and_b32_e32 v14, v14, v19
	v_and_b32_e32 v1, v1, v9
	v_xor_b32_e32 v9, vcc_hi, v15
	v_xor_b32_e32 v15, vcc_lo, v15
	v_ashrrev_i32_e32 v5, 31, v5
	v_and_b32_e32 v9, v14, v9
	v_and_b32_e32 v1, v1, v15
	v_xor_b32_e32 v14, s1, v5
	v_xor_b32_e32 v5, s0, v5
	v_and_b32_e32 v1, v1, v5
	v_lshlrev_b32_e32 v5, 27, v0
	v_cmp_gt_i64_e32 vcc, 0, v[4:5]
	v_not_b32_e32 v5, v5
	v_ashrrev_i32_e32 v5, 31, v5
	v_and_b32_e32 v9, v9, v14
	v_xor_b32_e32 v14, vcc_hi, v5
	v_xor_b32_e32 v5, vcc_lo, v5
	v_and_b32_e32 v1, v1, v5
	v_lshlrev_b32_e32 v5, 26, v0
	v_cmp_gt_i64_e32 vcc, 0, v[4:5]
	v_not_b32_e32 v5, v5
	v_ashrrev_i32_e32 v5, 31, v5
	v_and_b32_e32 v9, v9, v14
	v_xor_b32_e32 v14, vcc_hi, v5
	v_xor_b32_e32 v5, vcc_lo, v5
	;; [unrolled: 8-line block ×3, first 2 shown]
	v_and_b32_e32 v9, v9, v14
	v_and_b32_e32 v14, v1, v5
	v_lshlrev_b32_e32 v5, 24, v0
	v_not_b32_e32 v0, v5
	v_cmp_gt_i64_e32 vcc, 0, v[4:5]
	v_ashrrev_i32_e32 v0, 31, v0
	v_xor_b32_e32 v1, vcc_hi, v0
	v_xor_b32_e32 v0, vcc_lo, v0
	v_and_b32_e32 v0, v14, v0
	v_and_b32_e32 v1, v9, v1
	v_mbcnt_lo_u32_b32 v5, v0, 0
	v_mbcnt_hi_u32_b32 v9, v1, v5
	v_cmp_eq_u32_e32 vcc, 0, v9
	v_cmp_ne_u64_e64 s[0:1], 0, v[0:1]
	s_and_b64 s[4:5], s[0:1], vcc
	s_and_saveexec_b64 s[0:1], s[4:5]
	s_cbranch_execz .LBB18_132
; %bb.131:
	v_bcnt_u32_b32 v0, v0, 0
	v_bcnt_u32_b32 v0, v1, v0
	ds_write_b32 v8, v0 offset:16
.LBB18_132:
	s_or_b64 exec, exec, s[0:1]
	s_waitcnt vmcnt(10)
	v_cmp_lt_i16_e32 vcc, -1, v12
	v_cndmask_b32_e32 v0, -1, v13, vcc
	v_xor_b32_e32 v12, v0, v12
	v_cmp_ne_u16_e32 vcc, s2, v12
	v_cndmask_b32_e32 v0, v13, v12, vcc
	v_lshrrev_b32_sdwa v0, s68, v0 dst_sel:DWORD dst_unused:UNUSED_PAD src0_sel:DWORD src1_sel:WORD_0
	v_and_b32_e32 v0, s9, v0
	v_mul_u32_u24_e32 v1, 5, v0
	v_add_lshl_u32 v14, v18, v1, 2
	v_and_b32_e32 v1, 1, v0
	v_add_co_u32_e32 v5, vcc, -1, v1
	v_addc_co_u32_e64 v15, s[0:1], 0, -1, vcc
	v_cmp_ne_u32_e32 vcc, 0, v1
	v_xor_b32_e32 v5, vcc_lo, v5
	v_xor_b32_e32 v1, vcc_hi, v15
	v_and_b32_e32 v15, exec_lo, v5
	v_lshlrev_b32_e32 v5, 30, v0
	v_cmp_gt_i64_e32 vcc, 0, v[4:5]
	v_not_b32_e32 v5, v5
	v_ashrrev_i32_e32 v5, 31, v5
	v_xor_b32_e32 v19, vcc_hi, v5
	v_xor_b32_e32 v5, vcc_lo, v5
	v_and_b32_e32 v15, v15, v5
	v_lshlrev_b32_e32 v5, 29, v0
	v_cmp_gt_i64_e32 vcc, 0, v[4:5]
	v_not_b32_e32 v5, v5
	v_and_b32_e32 v1, exec_hi, v1
	v_ashrrev_i32_e32 v5, 31, v5
	v_and_b32_e32 v1, v1, v19
	v_xor_b32_e32 v19, vcc_hi, v5
	v_xor_b32_e32 v5, vcc_lo, v5
	v_and_b32_e32 v15, v15, v5
	v_lshlrev_b32_e32 v5, 28, v0
	v_cmp_gt_i64_e32 vcc, 0, v[4:5]
	v_not_b32_e32 v5, v5
	v_ashrrev_i32_e32 v5, 31, v5
	v_and_b32_e32 v1, v1, v19
	v_xor_b32_e32 v19, vcc_hi, v5
	v_xor_b32_e32 v5, vcc_lo, v5
	v_and_b32_e32 v15, v15, v5
	v_lshlrev_b32_e32 v5, 27, v0
	v_cmp_gt_i64_e32 vcc, 0, v[4:5]
	v_not_b32_e32 v5, v5
	;; [unrolled: 8-line block ×4, first 2 shown]
	v_ashrrev_i32_e32 v5, 31, v5
	v_and_b32_e32 v1, v1, v19
	v_xor_b32_e32 v19, vcc_hi, v5
	v_xor_b32_e32 v5, vcc_lo, v5
	v_and_b32_e32 v15, v15, v5
	v_lshlrev_b32_e32 v5, 24, v0
	v_not_b32_e32 v0, v5
	v_cmp_gt_i64_e32 vcc, 0, v[4:5]
	v_ashrrev_i32_e32 v0, 31, v0
	v_xor_b32_e32 v4, vcc_hi, v0
	v_xor_b32_e32 v0, vcc_lo, v0
	; wave barrier
	ds_read_b32 v13, v14 offset:16
	v_and_b32_e32 v1, v1, v19
	v_and_b32_e32 v0, v15, v0
	v_and_b32_e32 v1, v1, v4
	v_mbcnt_lo_u32_b32 v4, v0, 0
	v_mbcnt_hi_u32_b32 v15, v1, v4
	v_cmp_eq_u32_e32 vcc, 0, v15
	v_cmp_ne_u64_e64 s[0:1], 0, v[0:1]
	s_and_b64 s[2:3], s[0:1], vcc
	; wave barrier
	s_and_saveexec_b64 s[0:1], s[2:3]
	s_cbranch_execz .LBB18_134
; %bb.133:
	v_bcnt_u32_b32 v0, v0, 0
	v_bcnt_u32_b32 v0, v1, v0
	s_waitcnt lgkmcnt(0)
	v_add_u32_e32 v0, v13, v0
	ds_write_b32 v14, v0 offset:16
.LBB18_134:
	s_or_b64 exec, exec, s[0:1]
	v_mov_b32_e32 v24, 0xffff8000
	s_waitcnt vmcnt(9)
	v_cmp_lt_i16_e32 vcc, -1, v16
	v_cndmask_b32_e32 v0, -1, v24, vcc
	v_xor_b32_e32 v16, v0, v16
	s_movk_i32 s2, 0x7fff
	v_cmp_ne_u16_e32 vcc, s2, v16
	v_cndmask_b32_e32 v0, v24, v16, vcc
	v_lshrrev_b32_sdwa v0, s68, v0 dst_sel:DWORD dst_unused:UNUSED_PAD src0_sel:DWORD src1_sel:WORD_0
	v_and_b32_e32 v4, s9, v0
	v_and_b32_e32 v1, 1, v4
	v_add_co_u32_e32 v5, vcc, -1, v1
	v_addc_co_u32_e64 v22, s[0:1], 0, -1, vcc
	v_cmp_ne_u32_e32 vcc, 0, v1
	v_mul_u32_u24_e32 v0, 5, v4
	v_xor_b32_e32 v1, vcc_hi, v22
	v_add_lshl_u32 v20, v18, v0, 2
	v_mov_b32_e32 v0, 0
	v_and_b32_e32 v22, exec_hi, v1
	v_lshlrev_b32_e32 v1, 30, v4
	v_xor_b32_e32 v5, vcc_lo, v5
	v_cmp_gt_i64_e32 vcc, 0, v[0:1]
	v_not_b32_e32 v1, v1
	v_ashrrev_i32_e32 v1, 31, v1
	v_and_b32_e32 v5, exec_lo, v5
	v_xor_b32_e32 v25, vcc_hi, v1
	v_xor_b32_e32 v1, vcc_lo, v1
	v_and_b32_e32 v5, v5, v1
	v_lshlrev_b32_e32 v1, 29, v4
	v_cmp_gt_i64_e32 vcc, 0, v[0:1]
	v_not_b32_e32 v1, v1
	v_ashrrev_i32_e32 v1, 31, v1
	v_and_b32_e32 v22, v22, v25
	v_xor_b32_e32 v25, vcc_hi, v1
	v_xor_b32_e32 v1, vcc_lo, v1
	v_and_b32_e32 v5, v5, v1
	v_lshlrev_b32_e32 v1, 28, v4
	v_cmp_gt_i64_e32 vcc, 0, v[0:1]
	v_not_b32_e32 v1, v1
	v_ashrrev_i32_e32 v1, 31, v1
	v_and_b32_e32 v22, v22, v25
	;; [unrolled: 8-line block ×5, first 2 shown]
	v_xor_b32_e32 v25, vcc_hi, v1
	v_xor_b32_e32 v1, vcc_lo, v1
	v_and_b32_e32 v22, v22, v25
	v_and_b32_e32 v25, v5, v1
	v_lshlrev_b32_e32 v1, 24, v4
	v_cmp_gt_i64_e32 vcc, 0, v[0:1]
	v_not_b32_e32 v1, v1
	v_ashrrev_i32_e32 v1, 31, v1
	v_xor_b32_e32 v4, vcc_hi, v1
	v_xor_b32_e32 v1, vcc_lo, v1
	; wave barrier
	ds_read_b32 v19, v20 offset:16
	v_and_b32_e32 v5, v22, v4
	v_and_b32_e32 v4, v25, v1
	v_mbcnt_lo_u32_b32 v1, v4, 0
	v_mbcnt_hi_u32_b32 v22, v5, v1
	v_cmp_eq_u32_e32 vcc, 0, v22
	v_cmp_ne_u64_e64 s[0:1], 0, v[4:5]
	s_and_b64 s[4:5], s[0:1], vcc
	; wave barrier
	s_and_saveexec_b64 s[0:1], s[4:5]
	s_cbranch_execz .LBB18_136
; %bb.135:
	v_bcnt_u32_b32 v1, v4, 0
	v_bcnt_u32_b32 v1, v5, v1
	s_waitcnt lgkmcnt(0)
	v_add_u32_e32 v1, v19, v1
	ds_write_b32 v20, v1 offset:16
.LBB18_136:
	s_or_b64 exec, exec, s[0:1]
	s_waitcnt vmcnt(8)
	v_cmp_lt_i16_e32 vcc, -1, v21
	v_cndmask_b32_e32 v1, -1, v24, vcc
	v_xor_b32_e32 v21, v1, v21
	v_cmp_ne_u16_e32 vcc, s2, v21
	v_cndmask_b32_e32 v1, v24, v21, vcc
	v_lshrrev_b32_sdwa v1, s68, v1 dst_sel:DWORD dst_unused:UNUSED_PAD src0_sel:DWORD src1_sel:WORD_0
	v_and_b32_e32 v4, s9, v1
	v_mul_u32_u24_e32 v1, 5, v4
	v_add_lshl_u32 v25, v18, v1, 2
	v_and_b32_e32 v1, 1, v4
	v_add_co_u32_e32 v5, vcc, -1, v1
	v_addc_co_u32_e64 v27, s[0:1], 0, -1, vcc
	v_cmp_ne_u32_e32 vcc, 0, v1
	v_xor_b32_e32 v1, vcc_hi, v27
	v_and_b32_e32 v27, exec_hi, v1
	v_lshlrev_b32_e32 v1, 30, v4
	v_xor_b32_e32 v5, vcc_lo, v5
	v_cmp_gt_i64_e32 vcc, 0, v[0:1]
	v_not_b32_e32 v1, v1
	v_ashrrev_i32_e32 v1, 31, v1
	v_and_b32_e32 v5, exec_lo, v5
	v_xor_b32_e32 v29, vcc_hi, v1
	v_xor_b32_e32 v1, vcc_lo, v1
	v_and_b32_e32 v5, v5, v1
	v_lshlrev_b32_e32 v1, 29, v4
	v_cmp_gt_i64_e32 vcc, 0, v[0:1]
	v_not_b32_e32 v1, v1
	v_ashrrev_i32_e32 v1, 31, v1
	v_and_b32_e32 v27, v27, v29
	v_xor_b32_e32 v29, vcc_hi, v1
	v_xor_b32_e32 v1, vcc_lo, v1
	v_and_b32_e32 v5, v5, v1
	v_lshlrev_b32_e32 v1, 28, v4
	v_cmp_gt_i64_e32 vcc, 0, v[0:1]
	v_not_b32_e32 v1, v1
	v_ashrrev_i32_e32 v1, 31, v1
	v_and_b32_e32 v27, v27, v29
	;; [unrolled: 8-line block ×5, first 2 shown]
	v_xor_b32_e32 v29, vcc_hi, v1
	v_xor_b32_e32 v1, vcc_lo, v1
	v_and_b32_e32 v5, v5, v1
	v_lshlrev_b32_e32 v1, 24, v4
	v_cmp_gt_i64_e32 vcc, 0, v[0:1]
	v_not_b32_e32 v0, v1
	v_ashrrev_i32_e32 v0, 31, v0
	v_xor_b32_e32 v1, vcc_hi, v0
	v_xor_b32_e32 v0, vcc_lo, v0
	; wave barrier
	ds_read_b32 v24, v25 offset:16
	v_and_b32_e32 v27, v27, v29
	v_and_b32_e32 v0, v5, v0
	;; [unrolled: 1-line block ×3, first 2 shown]
	v_mbcnt_lo_u32_b32 v4, v0, 0
	v_mbcnt_hi_u32_b32 v27, v1, v4
	v_cmp_eq_u32_e32 vcc, 0, v27
	v_cmp_ne_u64_e64 s[0:1], 0, v[0:1]
	s_and_b64 s[2:3], s[0:1], vcc
	; wave barrier
	s_and_saveexec_b64 s[0:1], s[2:3]
	s_cbranch_execz .LBB18_138
; %bb.137:
	v_bcnt_u32_b32 v0, v0, 0
	v_bcnt_u32_b32 v0, v1, v0
	s_waitcnt lgkmcnt(0)
	v_add_u32_e32 v0, v24, v0
	ds_write_b32 v25, v0 offset:16
.LBB18_138:
	s_or_b64 exec, exec, s[0:1]
	v_mov_b32_e32 v34, 0xffff8000
	s_waitcnt vmcnt(7)
	v_cmp_lt_i16_e32 vcc, -1, v26
	v_cndmask_b32_e32 v0, -1, v34, vcc
	v_xor_b32_e32 v26, v0, v26
	s_movk_i32 s2, 0x7fff
	v_cmp_ne_u16_e32 vcc, s2, v26
	v_cndmask_b32_e32 v0, v34, v26, vcc
	v_lshrrev_b32_sdwa v0, s68, v0 dst_sel:DWORD dst_unused:UNUSED_PAD src0_sel:DWORD src1_sel:WORD_0
	v_and_b32_e32 v4, s9, v0
	v_and_b32_e32 v1, 1, v4
	v_add_co_u32_e32 v5, vcc, -1, v1
	v_addc_co_u32_e64 v32, s[0:1], 0, -1, vcc
	v_cmp_ne_u32_e32 vcc, 0, v1
	v_mul_u32_u24_e32 v0, 5, v4
	v_xor_b32_e32 v1, vcc_hi, v32
	v_add_lshl_u32 v30, v18, v0, 2
	v_mov_b32_e32 v0, 0
	v_and_b32_e32 v32, exec_hi, v1
	v_lshlrev_b32_e32 v1, 30, v4
	v_xor_b32_e32 v5, vcc_lo, v5
	v_cmp_gt_i64_e32 vcc, 0, v[0:1]
	v_not_b32_e32 v1, v1
	v_ashrrev_i32_e32 v1, 31, v1
	v_and_b32_e32 v5, exec_lo, v5
	v_xor_b32_e32 v35, vcc_hi, v1
	v_xor_b32_e32 v1, vcc_lo, v1
	v_and_b32_e32 v5, v5, v1
	v_lshlrev_b32_e32 v1, 29, v4
	v_cmp_gt_i64_e32 vcc, 0, v[0:1]
	v_not_b32_e32 v1, v1
	v_ashrrev_i32_e32 v1, 31, v1
	v_and_b32_e32 v32, v32, v35
	v_xor_b32_e32 v35, vcc_hi, v1
	v_xor_b32_e32 v1, vcc_lo, v1
	v_and_b32_e32 v5, v5, v1
	v_lshlrev_b32_e32 v1, 28, v4
	v_cmp_gt_i64_e32 vcc, 0, v[0:1]
	v_not_b32_e32 v1, v1
	v_ashrrev_i32_e32 v1, 31, v1
	v_and_b32_e32 v32, v32, v35
	;; [unrolled: 8-line block ×5, first 2 shown]
	v_xor_b32_e32 v35, vcc_hi, v1
	v_xor_b32_e32 v1, vcc_lo, v1
	v_and_b32_e32 v32, v32, v35
	v_and_b32_e32 v35, v5, v1
	v_lshlrev_b32_e32 v1, 24, v4
	v_cmp_gt_i64_e32 vcc, 0, v[0:1]
	v_not_b32_e32 v1, v1
	v_ashrrev_i32_e32 v1, 31, v1
	v_xor_b32_e32 v4, vcc_hi, v1
	v_xor_b32_e32 v1, vcc_lo, v1
	; wave barrier
	ds_read_b32 v29, v30 offset:16
	v_and_b32_e32 v5, v32, v4
	v_and_b32_e32 v4, v35, v1
	v_mbcnt_lo_u32_b32 v1, v4, 0
	v_mbcnt_hi_u32_b32 v32, v5, v1
	v_cmp_eq_u32_e32 vcc, 0, v32
	v_cmp_ne_u64_e64 s[0:1], 0, v[4:5]
	s_and_b64 s[4:5], s[0:1], vcc
	; wave barrier
	s_and_saveexec_b64 s[0:1], s[4:5]
	s_cbranch_execz .LBB18_140
; %bb.139:
	v_bcnt_u32_b32 v1, v4, 0
	v_bcnt_u32_b32 v1, v5, v1
	s_waitcnt lgkmcnt(0)
	v_add_u32_e32 v1, v29, v1
	ds_write_b32 v30, v1 offset:16
.LBB18_140:
	s_or_b64 exec, exec, s[0:1]
	s_waitcnt vmcnt(6)
	v_cmp_lt_i16_e32 vcc, -1, v31
	v_cndmask_b32_e32 v1, -1, v34, vcc
	v_xor_b32_e32 v31, v1, v31
	v_cmp_ne_u16_e32 vcc, s2, v31
	v_cndmask_b32_e32 v1, v34, v31, vcc
	v_lshrrev_b32_sdwa v1, s68, v1 dst_sel:DWORD dst_unused:UNUSED_PAD src0_sel:DWORD src1_sel:WORD_0
	v_and_b32_e32 v4, s9, v1
	v_mul_u32_u24_e32 v1, 5, v4
	v_add_lshl_u32 v35, v18, v1, 2
	v_and_b32_e32 v1, 1, v4
	v_add_co_u32_e32 v5, vcc, -1, v1
	v_addc_co_u32_e64 v37, s[0:1], 0, -1, vcc
	v_cmp_ne_u32_e32 vcc, 0, v1
	v_xor_b32_e32 v1, vcc_hi, v37
	v_and_b32_e32 v37, exec_hi, v1
	v_lshlrev_b32_e32 v1, 30, v4
	v_xor_b32_e32 v5, vcc_lo, v5
	v_cmp_gt_i64_e32 vcc, 0, v[0:1]
	v_not_b32_e32 v1, v1
	v_ashrrev_i32_e32 v1, 31, v1
	v_and_b32_e32 v5, exec_lo, v5
	v_xor_b32_e32 v39, vcc_hi, v1
	v_xor_b32_e32 v1, vcc_lo, v1
	v_and_b32_e32 v5, v5, v1
	v_lshlrev_b32_e32 v1, 29, v4
	v_cmp_gt_i64_e32 vcc, 0, v[0:1]
	v_not_b32_e32 v1, v1
	v_ashrrev_i32_e32 v1, 31, v1
	v_and_b32_e32 v37, v37, v39
	v_xor_b32_e32 v39, vcc_hi, v1
	v_xor_b32_e32 v1, vcc_lo, v1
	v_and_b32_e32 v5, v5, v1
	v_lshlrev_b32_e32 v1, 28, v4
	v_cmp_gt_i64_e32 vcc, 0, v[0:1]
	v_not_b32_e32 v1, v1
	v_ashrrev_i32_e32 v1, 31, v1
	v_and_b32_e32 v37, v37, v39
	;; [unrolled: 8-line block ×5, first 2 shown]
	v_xor_b32_e32 v39, vcc_hi, v1
	v_xor_b32_e32 v1, vcc_lo, v1
	v_and_b32_e32 v5, v5, v1
	v_lshlrev_b32_e32 v1, 24, v4
	v_cmp_gt_i64_e32 vcc, 0, v[0:1]
	v_not_b32_e32 v0, v1
	v_ashrrev_i32_e32 v0, 31, v0
	v_xor_b32_e32 v1, vcc_hi, v0
	v_xor_b32_e32 v0, vcc_lo, v0
	; wave barrier
	ds_read_b32 v34, v35 offset:16
	v_and_b32_e32 v37, v37, v39
	v_and_b32_e32 v0, v5, v0
	;; [unrolled: 1-line block ×3, first 2 shown]
	v_mbcnt_lo_u32_b32 v4, v0, 0
	v_mbcnt_hi_u32_b32 v37, v1, v4
	v_cmp_eq_u32_e32 vcc, 0, v37
	v_cmp_ne_u64_e64 s[0:1], 0, v[0:1]
	s_and_b64 s[2:3], s[0:1], vcc
	; wave barrier
	s_and_saveexec_b64 s[0:1], s[2:3]
	s_cbranch_execz .LBB18_142
; %bb.141:
	v_bcnt_u32_b32 v0, v0, 0
	v_bcnt_u32_b32 v0, v1, v0
	s_waitcnt lgkmcnt(0)
	v_add_u32_e32 v0, v34, v0
	ds_write_b32 v35, v0 offset:16
.LBB18_142:
	s_or_b64 exec, exec, s[0:1]
	v_mov_b32_e32 v42, 0xffff8000
	s_waitcnt vmcnt(5)
	v_cmp_lt_i16_e32 vcc, -1, v36
	v_cndmask_b32_e32 v0, -1, v42, vcc
	v_xor_b32_e32 v36, v0, v36
	s_movk_i32 s2, 0x7fff
	v_cmp_ne_u16_e32 vcc, s2, v36
	v_cndmask_b32_e32 v0, v42, v36, vcc
	v_lshrrev_b32_sdwa v0, s68, v0 dst_sel:DWORD dst_unused:UNUSED_PAD src0_sel:DWORD src1_sel:WORD_0
	v_and_b32_e32 v4, s9, v0
	v_and_b32_e32 v1, 1, v4
	v_add_co_u32_e32 v5, vcc, -1, v1
	v_addc_co_u32_e64 v41, s[0:1], 0, -1, vcc
	v_cmp_ne_u32_e32 vcc, 0, v1
	v_mul_u32_u24_e32 v0, 5, v4
	v_xor_b32_e32 v1, vcc_hi, v41
	v_add_lshl_u32 v40, v18, v0, 2
	v_mov_b32_e32 v0, 0
	v_and_b32_e32 v41, exec_hi, v1
	v_lshlrev_b32_e32 v1, 30, v4
	v_xor_b32_e32 v5, vcc_lo, v5
	v_cmp_gt_i64_e32 vcc, 0, v[0:1]
	v_not_b32_e32 v1, v1
	v_ashrrev_i32_e32 v1, 31, v1
	v_and_b32_e32 v5, exec_lo, v5
	v_xor_b32_e32 v43, vcc_hi, v1
	v_xor_b32_e32 v1, vcc_lo, v1
	v_and_b32_e32 v5, v5, v1
	v_lshlrev_b32_e32 v1, 29, v4
	v_cmp_gt_i64_e32 vcc, 0, v[0:1]
	v_not_b32_e32 v1, v1
	v_ashrrev_i32_e32 v1, 31, v1
	v_and_b32_e32 v41, v41, v43
	v_xor_b32_e32 v43, vcc_hi, v1
	v_xor_b32_e32 v1, vcc_lo, v1
	v_and_b32_e32 v5, v5, v1
	v_lshlrev_b32_e32 v1, 28, v4
	v_cmp_gt_i64_e32 vcc, 0, v[0:1]
	v_not_b32_e32 v1, v1
	v_ashrrev_i32_e32 v1, 31, v1
	v_and_b32_e32 v41, v41, v43
	;; [unrolled: 8-line block ×5, first 2 shown]
	v_xor_b32_e32 v43, vcc_hi, v1
	v_xor_b32_e32 v1, vcc_lo, v1
	v_and_b32_e32 v41, v41, v43
	v_and_b32_e32 v43, v5, v1
	v_lshlrev_b32_e32 v1, 24, v4
	v_cmp_gt_i64_e32 vcc, 0, v[0:1]
	v_not_b32_e32 v1, v1
	v_ashrrev_i32_e32 v1, 31, v1
	v_xor_b32_e32 v4, vcc_hi, v1
	v_xor_b32_e32 v1, vcc_lo, v1
	; wave barrier
	ds_read_b32 v39, v40 offset:16
	v_and_b32_e32 v5, v41, v4
	v_and_b32_e32 v4, v43, v1
	v_mbcnt_lo_u32_b32 v1, v4, 0
	v_mbcnt_hi_u32_b32 v41, v5, v1
	v_cmp_eq_u32_e32 vcc, 0, v41
	v_cmp_ne_u64_e64 s[0:1], 0, v[4:5]
	s_and_b64 s[4:5], s[0:1], vcc
	; wave barrier
	s_and_saveexec_b64 s[0:1], s[4:5]
	s_cbranch_execz .LBB18_144
; %bb.143:
	v_bcnt_u32_b32 v1, v4, 0
	v_bcnt_u32_b32 v1, v5, v1
	s_waitcnt lgkmcnt(0)
	v_add_u32_e32 v1, v39, v1
	ds_write_b32 v40, v1 offset:16
.LBB18_144:
	s_or_b64 exec, exec, s[0:1]
	s_waitcnt vmcnt(4)
	v_cmp_lt_i16_e32 vcc, -1, v38
	v_cndmask_b32_e32 v1, -1, v42, vcc
	v_xor_b32_e32 v38, v1, v38
	v_cmp_ne_u16_e32 vcc, s2, v38
	v_cndmask_b32_e32 v1, v42, v38, vcc
	v_lshrrev_b32_sdwa v1, s68, v1 dst_sel:DWORD dst_unused:UNUSED_PAD src0_sel:DWORD src1_sel:WORD_0
	v_and_b32_e32 v4, s9, v1
	v_mul_u32_u24_e32 v1, 5, v4
	v_add_lshl_u32 v43, v18, v1, 2
	v_and_b32_e32 v1, 1, v4
	v_add_co_u32_e32 v5, vcc, -1, v1
	v_addc_co_u32_e64 v44, s[0:1], 0, -1, vcc
	v_cmp_ne_u32_e32 vcc, 0, v1
	v_xor_b32_e32 v1, vcc_hi, v44
	v_and_b32_e32 v44, exec_hi, v1
	v_lshlrev_b32_e32 v1, 30, v4
	v_xor_b32_e32 v5, vcc_lo, v5
	v_cmp_gt_i64_e32 vcc, 0, v[0:1]
	v_not_b32_e32 v1, v1
	v_ashrrev_i32_e32 v1, 31, v1
	v_and_b32_e32 v5, exec_lo, v5
	v_xor_b32_e32 v45, vcc_hi, v1
	v_xor_b32_e32 v1, vcc_lo, v1
	v_and_b32_e32 v5, v5, v1
	v_lshlrev_b32_e32 v1, 29, v4
	v_cmp_gt_i64_e32 vcc, 0, v[0:1]
	v_not_b32_e32 v1, v1
	v_ashrrev_i32_e32 v1, 31, v1
	v_and_b32_e32 v44, v44, v45
	v_xor_b32_e32 v45, vcc_hi, v1
	v_xor_b32_e32 v1, vcc_lo, v1
	v_and_b32_e32 v5, v5, v1
	v_lshlrev_b32_e32 v1, 28, v4
	v_cmp_gt_i64_e32 vcc, 0, v[0:1]
	v_not_b32_e32 v1, v1
	v_ashrrev_i32_e32 v1, 31, v1
	v_and_b32_e32 v44, v44, v45
	;; [unrolled: 8-line block ×5, first 2 shown]
	v_xor_b32_e32 v45, vcc_hi, v1
	v_xor_b32_e32 v1, vcc_lo, v1
	v_and_b32_e32 v5, v5, v1
	v_lshlrev_b32_e32 v1, 24, v4
	v_cmp_gt_i64_e32 vcc, 0, v[0:1]
	v_not_b32_e32 v0, v1
	v_ashrrev_i32_e32 v0, 31, v0
	v_xor_b32_e32 v1, vcc_hi, v0
	v_xor_b32_e32 v0, vcc_lo, v0
	; wave barrier
	ds_read_b32 v42, v43 offset:16
	v_and_b32_e32 v44, v44, v45
	v_and_b32_e32 v0, v5, v0
	v_and_b32_e32 v1, v44, v1
	v_mbcnt_lo_u32_b32 v4, v0, 0
	v_mbcnt_hi_u32_b32 v44, v1, v4
	v_cmp_eq_u32_e32 vcc, 0, v44
	v_cmp_ne_u64_e64 s[0:1], 0, v[0:1]
	s_and_b64 s[2:3], s[0:1], vcc
	; wave barrier
	s_and_saveexec_b64 s[0:1], s[2:3]
	s_cbranch_execz .LBB18_146
; %bb.145:
	v_bcnt_u32_b32 v0, v0, 0
	v_bcnt_u32_b32 v0, v1, v0
	s_waitcnt lgkmcnt(0)
	v_add_u32_e32 v0, v42, v0
	ds_write_b32 v43, v0 offset:16
.LBB18_146:
	s_or_b64 exec, exec, s[0:1]
	v_mov_b32_e32 v49, 0xffff8000
	s_waitcnt vmcnt(3)
	v_cmp_lt_i16_e32 vcc, -1, v33
	v_cndmask_b32_e32 v0, -1, v49, vcc
	v_xor_b32_e32 v33, v0, v33
	s_movk_i32 s2, 0x7fff
	v_cmp_ne_u16_e32 vcc, s2, v33
	v_cndmask_b32_e32 v0, v49, v33, vcc
	v_lshrrev_b32_sdwa v0, s68, v0 dst_sel:DWORD dst_unused:UNUSED_PAD src0_sel:DWORD src1_sel:WORD_0
	v_and_b32_e32 v4, s9, v0
	v_and_b32_e32 v1, 1, v4
	v_add_co_u32_e32 v5, vcc, -1, v1
	v_addc_co_u32_e64 v47, s[0:1], 0, -1, vcc
	v_cmp_ne_u32_e32 vcc, 0, v1
	v_mul_u32_u24_e32 v0, 5, v4
	v_xor_b32_e32 v1, vcc_hi, v47
	v_add_lshl_u32 v46, v18, v0, 2
	v_mov_b32_e32 v0, 0
	v_and_b32_e32 v47, exec_hi, v1
	v_lshlrev_b32_e32 v1, 30, v4
	v_xor_b32_e32 v5, vcc_lo, v5
	v_cmp_gt_i64_e32 vcc, 0, v[0:1]
	v_not_b32_e32 v1, v1
	v_ashrrev_i32_e32 v1, 31, v1
	v_and_b32_e32 v5, exec_lo, v5
	v_xor_b32_e32 v48, vcc_hi, v1
	v_xor_b32_e32 v1, vcc_lo, v1
	v_and_b32_e32 v5, v5, v1
	v_lshlrev_b32_e32 v1, 29, v4
	v_cmp_gt_i64_e32 vcc, 0, v[0:1]
	v_not_b32_e32 v1, v1
	v_ashrrev_i32_e32 v1, 31, v1
	v_and_b32_e32 v47, v47, v48
	v_xor_b32_e32 v48, vcc_hi, v1
	v_xor_b32_e32 v1, vcc_lo, v1
	v_and_b32_e32 v5, v5, v1
	v_lshlrev_b32_e32 v1, 28, v4
	v_cmp_gt_i64_e32 vcc, 0, v[0:1]
	v_not_b32_e32 v1, v1
	v_ashrrev_i32_e32 v1, 31, v1
	v_and_b32_e32 v47, v47, v48
	;; [unrolled: 8-line block ×5, first 2 shown]
	v_xor_b32_e32 v48, vcc_hi, v1
	v_xor_b32_e32 v1, vcc_lo, v1
	v_and_b32_e32 v47, v47, v48
	v_and_b32_e32 v48, v5, v1
	v_lshlrev_b32_e32 v1, 24, v4
	v_cmp_gt_i64_e32 vcc, 0, v[0:1]
	v_not_b32_e32 v1, v1
	v_ashrrev_i32_e32 v1, 31, v1
	v_xor_b32_e32 v4, vcc_hi, v1
	v_xor_b32_e32 v1, vcc_lo, v1
	; wave barrier
	ds_read_b32 v45, v46 offset:16
	v_and_b32_e32 v5, v47, v4
	v_and_b32_e32 v4, v48, v1
	v_mbcnt_lo_u32_b32 v1, v4, 0
	v_mbcnt_hi_u32_b32 v48, v5, v1
	v_cmp_eq_u32_e32 vcc, 0, v48
	v_cmp_ne_u64_e64 s[0:1], 0, v[4:5]
	s_and_b64 s[4:5], s[0:1], vcc
	; wave barrier
	s_and_saveexec_b64 s[0:1], s[4:5]
	s_cbranch_execz .LBB18_148
; %bb.147:
	v_bcnt_u32_b32 v1, v4, 0
	v_bcnt_u32_b32 v1, v5, v1
	s_waitcnt lgkmcnt(0)
	v_add_u32_e32 v1, v45, v1
	ds_write_b32 v46, v1 offset:16
.LBB18_148:
	s_or_b64 exec, exec, s[0:1]
	s_waitcnt vmcnt(2)
	v_cmp_lt_i16_e32 vcc, -1, v28
	v_cndmask_b32_e32 v1, -1, v49, vcc
	v_xor_b32_e32 v47, v1, v28
	v_cmp_ne_u16_e32 vcc, s2, v47
	v_cndmask_b32_e32 v1, v49, v47, vcc
	v_lshrrev_b32_sdwa v1, s68, v1 dst_sel:DWORD dst_unused:UNUSED_PAD src0_sel:DWORD src1_sel:WORD_0
	v_and_b32_e32 v4, s9, v1
	v_mul_u32_u24_e32 v1, 5, v4
	v_add_lshl_u32 v28, v18, v1, 2
	v_and_b32_e32 v1, 1, v4
	v_add_co_u32_e32 v5, vcc, -1, v1
	v_addc_co_u32_e64 v50, s[0:1], 0, -1, vcc
	v_cmp_ne_u32_e32 vcc, 0, v1
	v_xor_b32_e32 v1, vcc_hi, v50
	v_and_b32_e32 v50, exec_hi, v1
	v_lshlrev_b32_e32 v1, 30, v4
	v_xor_b32_e32 v5, vcc_lo, v5
	v_cmp_gt_i64_e32 vcc, 0, v[0:1]
	v_not_b32_e32 v1, v1
	v_ashrrev_i32_e32 v1, 31, v1
	v_and_b32_e32 v5, exec_lo, v5
	v_xor_b32_e32 v51, vcc_hi, v1
	v_xor_b32_e32 v1, vcc_lo, v1
	v_and_b32_e32 v5, v5, v1
	v_lshlrev_b32_e32 v1, 29, v4
	v_cmp_gt_i64_e32 vcc, 0, v[0:1]
	v_not_b32_e32 v1, v1
	v_ashrrev_i32_e32 v1, 31, v1
	v_and_b32_e32 v50, v50, v51
	v_xor_b32_e32 v51, vcc_hi, v1
	v_xor_b32_e32 v1, vcc_lo, v1
	v_and_b32_e32 v5, v5, v1
	v_lshlrev_b32_e32 v1, 28, v4
	v_cmp_gt_i64_e32 vcc, 0, v[0:1]
	v_not_b32_e32 v1, v1
	v_ashrrev_i32_e32 v1, 31, v1
	v_and_b32_e32 v50, v50, v51
	;; [unrolled: 8-line block ×5, first 2 shown]
	v_xor_b32_e32 v51, vcc_hi, v1
	v_xor_b32_e32 v1, vcc_lo, v1
	v_and_b32_e32 v5, v5, v1
	v_lshlrev_b32_e32 v1, 24, v4
	v_cmp_gt_i64_e32 vcc, 0, v[0:1]
	v_not_b32_e32 v0, v1
	v_ashrrev_i32_e32 v0, 31, v0
	v_xor_b32_e32 v1, vcc_hi, v0
	v_xor_b32_e32 v0, vcc_lo, v0
	; wave barrier
	ds_read_b32 v49, v28 offset:16
	v_and_b32_e32 v50, v50, v51
	v_and_b32_e32 v0, v5, v0
	;; [unrolled: 1-line block ×3, first 2 shown]
	v_mbcnt_lo_u32_b32 v4, v0, 0
	v_mbcnt_hi_u32_b32 v51, v1, v4
	v_cmp_eq_u32_e32 vcc, 0, v51
	v_cmp_ne_u64_e64 s[0:1], 0, v[0:1]
	s_and_b64 s[2:3], s[0:1], vcc
	; wave barrier
	s_and_saveexec_b64 s[0:1], s[2:3]
	s_cbranch_execz .LBB18_150
; %bb.149:
	v_bcnt_u32_b32 v0, v0, 0
	v_bcnt_u32_b32 v0, v1, v0
	s_waitcnt lgkmcnt(0)
	v_add_u32_e32 v0, v49, v0
	ds_write_b32 v28, v0 offset:16
.LBB18_150:
	s_or_b64 exec, exec, s[0:1]
	v_mov_b32_e32 v55, 0xffff8000
	s_waitcnt vmcnt(1)
	v_cmp_lt_i16_e32 vcc, -1, v23
	v_cndmask_b32_e32 v0, -1, v55, vcc
	v_xor_b32_e32 v50, v0, v23
	s_movk_i32 s2, 0x7fff
	v_cmp_ne_u16_e32 vcc, s2, v50
	v_cndmask_b32_e32 v0, v55, v50, vcc
	v_lshrrev_b32_sdwa v0, s68, v0 dst_sel:DWORD dst_unused:UNUSED_PAD src0_sel:DWORD src1_sel:WORD_0
	v_and_b32_e32 v4, s9, v0
	v_and_b32_e32 v1, 1, v4
	v_add_co_u32_e32 v5, vcc, -1, v1
	v_addc_co_u32_e64 v53, s[0:1], 0, -1, vcc
	v_cmp_ne_u32_e32 vcc, 0, v1
	v_mul_u32_u24_e32 v0, 5, v4
	v_xor_b32_e32 v1, vcc_hi, v53
	v_add_lshl_u32 v23, v0, v18, 2
	v_mov_b32_e32 v0, 0
	v_and_b32_e32 v53, exec_hi, v1
	v_lshlrev_b32_e32 v1, 30, v4
	v_xor_b32_e32 v5, vcc_lo, v5
	v_cmp_gt_i64_e32 vcc, 0, v[0:1]
	v_not_b32_e32 v1, v1
	v_ashrrev_i32_e32 v1, 31, v1
	v_and_b32_e32 v5, exec_lo, v5
	v_xor_b32_e32 v54, vcc_hi, v1
	v_xor_b32_e32 v1, vcc_lo, v1
	v_and_b32_e32 v5, v5, v1
	v_lshlrev_b32_e32 v1, 29, v4
	v_cmp_gt_i64_e32 vcc, 0, v[0:1]
	v_not_b32_e32 v1, v1
	v_ashrrev_i32_e32 v1, 31, v1
	v_and_b32_e32 v53, v53, v54
	v_xor_b32_e32 v54, vcc_hi, v1
	v_xor_b32_e32 v1, vcc_lo, v1
	v_and_b32_e32 v5, v5, v1
	v_lshlrev_b32_e32 v1, 28, v4
	v_cmp_gt_i64_e32 vcc, 0, v[0:1]
	v_not_b32_e32 v1, v1
	v_ashrrev_i32_e32 v1, 31, v1
	v_and_b32_e32 v53, v53, v54
	;; [unrolled: 8-line block ×5, first 2 shown]
	v_xor_b32_e32 v54, vcc_hi, v1
	v_xor_b32_e32 v1, vcc_lo, v1
	v_and_b32_e32 v53, v53, v54
	v_and_b32_e32 v54, v5, v1
	v_lshlrev_b32_e32 v1, 24, v4
	v_cmp_gt_i64_e32 vcc, 0, v[0:1]
	v_not_b32_e32 v1, v1
	v_ashrrev_i32_e32 v1, 31, v1
	v_xor_b32_e32 v4, vcc_hi, v1
	v_xor_b32_e32 v1, vcc_lo, v1
	; wave barrier
	ds_read_b32 v52, v23 offset:16
	v_and_b32_e32 v5, v53, v4
	v_and_b32_e32 v4, v54, v1
	v_mbcnt_lo_u32_b32 v1, v4, 0
	v_mbcnt_hi_u32_b32 v54, v5, v1
	v_cmp_eq_u32_e32 vcc, 0, v54
	v_cmp_ne_u64_e64 s[0:1], 0, v[4:5]
	s_and_b64 s[4:5], s[0:1], vcc
	; wave barrier
	s_and_saveexec_b64 s[0:1], s[4:5]
	s_cbranch_execz .LBB18_152
; %bb.151:
	v_bcnt_u32_b32 v1, v4, 0
	v_bcnt_u32_b32 v1, v5, v1
	s_waitcnt lgkmcnt(0)
	v_add_u32_e32 v1, v52, v1
	ds_write_b32 v23, v1 offset:16
.LBB18_152:
	s_or_b64 exec, exec, s[0:1]
	s_waitcnt vmcnt(0)
	v_cmp_lt_i16_e32 vcc, -1, v17
	v_cndmask_b32_e32 v1, -1, v55, vcc
	v_xor_b32_e32 v53, v1, v17
	v_cmp_ne_u16_e32 vcc, s2, v53
	v_cndmask_b32_e32 v1, v55, v53, vcc
	v_lshrrev_b32_sdwa v1, s68, v1 dst_sel:DWORD dst_unused:UNUSED_PAD src0_sel:DWORD src1_sel:WORD_0
	v_and_b32_e32 v4, s9, v1
	v_mul_u32_u24_e32 v1, 5, v4
	v_add_lshl_u32 v17, v1, v18, 2
	v_and_b32_e32 v1, 1, v4
	v_add_co_u32_e32 v5, vcc, -1, v1
	v_addc_co_u32_e64 v18, s[0:1], 0, -1, vcc
	v_cmp_ne_u32_e32 vcc, 0, v1
	v_xor_b32_e32 v1, vcc_hi, v18
	v_and_b32_e32 v18, exec_hi, v1
	v_lshlrev_b32_e32 v1, 30, v4
	v_xor_b32_e32 v5, vcc_lo, v5
	v_cmp_gt_i64_e32 vcc, 0, v[0:1]
	v_not_b32_e32 v1, v1
	v_ashrrev_i32_e32 v1, 31, v1
	v_and_b32_e32 v5, exec_lo, v5
	v_xor_b32_e32 v57, vcc_hi, v1
	v_xor_b32_e32 v1, vcc_lo, v1
	v_and_b32_e32 v5, v5, v1
	v_lshlrev_b32_e32 v1, 29, v4
	v_cmp_gt_i64_e32 vcc, 0, v[0:1]
	v_not_b32_e32 v1, v1
	v_ashrrev_i32_e32 v1, 31, v1
	v_and_b32_e32 v18, v18, v57
	v_xor_b32_e32 v57, vcc_hi, v1
	v_xor_b32_e32 v1, vcc_lo, v1
	v_and_b32_e32 v5, v5, v1
	v_lshlrev_b32_e32 v1, 28, v4
	v_cmp_gt_i64_e32 vcc, 0, v[0:1]
	v_not_b32_e32 v1, v1
	v_ashrrev_i32_e32 v1, 31, v1
	v_and_b32_e32 v18, v18, v57
	;; [unrolled: 8-line block ×5, first 2 shown]
	v_xor_b32_e32 v57, vcc_hi, v1
	v_xor_b32_e32 v1, vcc_lo, v1
	v_and_b32_e32 v5, v5, v1
	v_lshlrev_b32_e32 v1, 24, v4
	v_cmp_gt_i64_e32 vcc, 0, v[0:1]
	v_not_b32_e32 v0, v1
	v_ashrrev_i32_e32 v0, 31, v0
	v_xor_b32_e32 v1, vcc_hi, v0
	v_xor_b32_e32 v0, vcc_lo, v0
	; wave barrier
	ds_read_b32 v55, v17 offset:16
	v_and_b32_e32 v18, v18, v57
	v_and_b32_e32 v0, v5, v0
	;; [unrolled: 1-line block ×3, first 2 shown]
	v_mbcnt_lo_u32_b32 v4, v0, 0
	v_mbcnt_hi_u32_b32 v57, v1, v4
	v_cmp_eq_u32_e32 vcc, 0, v57
	v_cmp_ne_u64_e64 s[0:1], 0, v[0:1]
	v_add_u32_e32 v56, 16, v6
	s_and_b64 s[2:3], s[0:1], vcc
	; wave barrier
	s_and_saveexec_b64 s[0:1], s[2:3]
	s_cbranch_execz .LBB18_154
; %bb.153:
	v_bcnt_u32_b32 v0, v0, 0
	v_bcnt_u32_b32 v0, v1, v0
	s_waitcnt lgkmcnt(0)
	v_add_u32_e32 v0, v55, v0
	ds_write_b32 v17, v0 offset:16
.LBB18_154:
	s_or_b64 exec, exec, s[0:1]
	; wave barrier
	s_waitcnt lgkmcnt(0)
	s_barrier
	ds_read2_b32 v[4:5], v6 offset0:4 offset1:5
	ds_read2_b32 v[0:1], v56 offset0:2 offset1:3
	ds_read_b32 v18, v56 offset:16
	v_min_u32_e32 v7, 0xc0, v7
	v_or_b32_e32 v7, 63, v7
	s_waitcnt lgkmcnt(1)
	v_add3_u32 v58, v5, v4, v0
	s_waitcnt lgkmcnt(0)
	v_add3_u32 v18, v58, v1, v18
	v_and_b32_e32 v58, 15, v11
	v_cmp_ne_u32_e32 vcc, 0, v58
	v_mov_b32_dpp v59, v18 row_shr:1 row_mask:0xf bank_mask:0xf
	v_cndmask_b32_e32 v59, 0, v59, vcc
	v_add_u32_e32 v18, v59, v18
	v_cmp_lt_u32_e32 vcc, 1, v58
	s_nop 0
	v_mov_b32_dpp v59, v18 row_shr:2 row_mask:0xf bank_mask:0xf
	v_cndmask_b32_e32 v59, 0, v59, vcc
	v_add_u32_e32 v18, v18, v59
	v_cmp_lt_u32_e32 vcc, 3, v58
	s_nop 0
	;; [unrolled: 5-line block ×3, first 2 shown]
	v_mov_b32_dpp v59, v18 row_shr:8 row_mask:0xf bank_mask:0xf
	v_cndmask_b32_e32 v58, 0, v59, vcc
	v_add_u32_e32 v18, v18, v58
	v_bfe_i32 v59, v11, 4, 1
	v_cmp_lt_u32_e32 vcc, 31, v11
	v_mov_b32_dpp v58, v18 row_bcast:15 row_mask:0xf bank_mask:0xf
	v_and_b32_e32 v58, v59, v58
	v_add_u32_e32 v18, v18, v58
	s_nop 1
	v_mov_b32_dpp v58, v18 row_bcast:31 row_mask:0xf bank_mask:0xf
	v_cndmask_b32_e32 v58, 0, v58, vcc
	v_add_u32_e32 v18, v18, v58
	v_lshrrev_b32_e32 v58, 6, v2
	v_cmp_eq_u32_e32 vcc, v7, v2
	s_and_saveexec_b64 s[0:1], vcc
	s_cbranch_execz .LBB18_156
; %bb.155:
	v_lshlrev_b32_e32 v7, 2, v58
	ds_write_b32 v7, v18
.LBB18_156:
	s_or_b64 exec, exec, s[0:1]
	v_cmp_gt_u32_e32 vcc, 4, v2
	s_waitcnt lgkmcnt(0)
	s_barrier
	s_and_saveexec_b64 s[0:1], vcc
	s_cbranch_execz .LBB18_158
; %bb.157:
	v_lshlrev_b32_e32 v7, 2, v2
	ds_read_b32 v59, v7
	v_and_b32_e32 v60, 3, v11
	v_cmp_ne_u32_e32 vcc, 0, v60
	s_waitcnt lgkmcnt(0)
	v_mov_b32_dpp v61, v59 row_shr:1 row_mask:0xf bank_mask:0xf
	v_cndmask_b32_e32 v61, 0, v61, vcc
	v_add_u32_e32 v59, v61, v59
	v_cmp_lt_u32_e32 vcc, 1, v60
	s_nop 0
	v_mov_b32_dpp v61, v59 row_shr:2 row_mask:0xf bank_mask:0xf
	v_cndmask_b32_e32 v60, 0, v61, vcc
	v_add_u32_e32 v59, v59, v60
	ds_write_b32 v7, v59
.LBB18_158:
	s_or_b64 exec, exec, s[0:1]
	v_cmp_lt_u32_e32 vcc, 63, v2
	v_mov_b32_e32 v7, 0
	s_waitcnt lgkmcnt(0)
	s_barrier
	s_and_saveexec_b64 s[0:1], vcc
	s_cbranch_execz .LBB18_160
; %bb.159:
	v_lshl_add_u32 v7, v58, 2, -4
	ds_read_b32 v7, v7
.LBB18_160:
	s_or_b64 exec, exec, s[0:1]
	v_add_u32_e32 v58, -1, v11
	v_and_b32_e32 v59, 64, v11
	v_cmp_lt_i32_e32 vcc, v58, v59
	v_cndmask_b32_e32 v58, v58, v11, vcc
	s_waitcnt lgkmcnt(0)
	v_add_u32_e32 v18, v7, v18
	v_lshlrev_b32_e32 v58, 2, v58
	ds_bpermute_b32 v18, v58, v18
	v_cmp_eq_u32_e32 vcc, 0, v11
	s_movk_i32 s0, 0x100
	s_waitcnt lgkmcnt(0)
	v_cndmask_b32_e32 v7, v18, v7, vcc
	v_cmp_ne_u32_e32 vcc, 0, v2
	v_cndmask_b32_e32 v7, 0, v7, vcc
	v_add_u32_e32 v4, v7, v4
	v_add_u32_e32 v5, v4, v5
	;; [unrolled: 1-line block ×4, first 2 shown]
	ds_write2_b32 v6, v7, v4 offset0:4 offset1:5
	ds_write2_b32 v56, v5, v0 offset0:2 offset1:3
	ds_write_b32 v56, v1 offset:16
	s_waitcnt lgkmcnt(0)
	s_barrier
	ds_read_b32 v1, v14 offset:16
	ds_read_b32 v5, v20 offset:16
	;; [unrolled: 1-line block ×13, first 2 shown]
	v_add_u32_e32 v6, 1, v2
	v_cmp_ne_u32_e32 vcc, s0, v6
	v_mov_b32_e32 v0, 0xc00
	s_and_saveexec_b64 s[0:1], vcc
	s_cbranch_execz .LBB18_162
; %bb.161:
	v_mul_u32_u24_e32 v0, 5, v6
	v_lshlrev_b32_e32 v0, 2, v0
	ds_read_b32 v0, v0 offset:16
.LBB18_162:
	s_or_b64 exec, exec, s[0:1]
	s_waitcnt lgkmcnt(1)
	v_add_u32_e32 v30, v8, v9
	v_add3_u32 v28, v15, v13, v1
	v_lshlrev_b32_e32 v1, 1, v30
	v_add3_u32 v25, v22, v19, v5
	s_waitcnt lgkmcnt(0)
	s_barrier
	ds_write_b16 v1, v3 offset:2048
	v_lshlrev_b32_e32 v1, 1, v28
	v_add3_u32 v23, v27, v24, v7
	ds_write_b16 v1, v12 offset:2048
	v_lshlrev_b32_e32 v1, 1, v25
	v_add3_u32 v22, v32, v29, v14
	;; [unrolled: 3-line block ×9, first 2 shown]
	ds_write_b16 v1, v47 offset:2048
	v_lshlrev_b32_e32 v1, 1, v14
	ds_write_b16 v1, v50 offset:2048
	v_lshlrev_b32_e32 v1, 1, v13
	ds_write_b16 v1, v53 offset:2048
	v_sub_u32_e32 v32, v0, v4
	v_lshl_add_u32 v0, s6, 8, v2
	v_mov_b32_e32 v1, 0
	v_lshlrev_b64 v[6:7], 2, v[0:1]
	v_mov_b32_e32 v3, s73
	v_add_co_u32_e32 v6, vcc, s72, v6
	v_addc_co_u32_e32 v7, vcc, v3, v7, vcc
	v_or_b32_e32 v0, 2.0, v32
	s_mov_b64 s[0:1], 0
	s_brev_b32 s10, 1
	v_mov_b32_e32 v5, 0
	s_waitcnt lgkmcnt(0)
	s_barrier
	global_store_dword v[6:7], v0, off
                                        ; implicit-def: $sgpr2_sgpr3
	s_branch .LBB18_165
.LBB18_163:                             ;   in Loop: Header=BB18_165 Depth=1
	s_or_b64 exec, exec, s[4:5]
.LBB18_164:                             ;   in Loop: Header=BB18_165 Depth=1
	s_or_b64 exec, exec, s[2:3]
	v_and_b32_e32 v8, 0x3fffffff, v12
	v_add_u32_e32 v5, v8, v5
	v_cmp_eq_u32_e64 s[2:3], s10, v0
	s_and_b64 s[4:5], exec, s[2:3]
	s_or_b64 s[0:1], s[4:5], s[0:1]
	s_andn2_b64 exec, exec, s[0:1]
	s_cbranch_execz .LBB18_170
.LBB18_165:                             ; =>This Loop Header: Depth=1
                                        ;     Child Loop BB18_168 Depth 2
	s_or_b64 s[2:3], s[2:3], exec
	s_cmp_eq_u32 s7, 0
	s_cbranch_scc1 .LBB18_169
; %bb.166:                              ;   in Loop: Header=BB18_165 Depth=1
	s_add_i32 s7, s7, -1
	v_lshl_add_u32 v0, s7, 8, v2
	v_lshlrev_b64 v[8:9], 2, v[0:1]
	v_add_co_u32_e32 v8, vcc, s72, v8
	v_addc_co_u32_e32 v9, vcc, v3, v9, vcc
	global_load_dword v12, v[8:9], off glc
	s_waitcnt vmcnt(0)
	v_and_b32_e32 v0, -2.0, v12
	v_cmp_eq_u32_e32 vcc, 0, v0
	s_and_saveexec_b64 s[2:3], vcc
	s_cbranch_execz .LBB18_164
; %bb.167:                              ;   in Loop: Header=BB18_165 Depth=1
	s_mov_b64 s[4:5], 0
.LBB18_168:                             ;   Parent Loop BB18_165 Depth=1
                                        ; =>  This Inner Loop Header: Depth=2
	global_load_dword v12, v[8:9], off glc
	s_waitcnt vmcnt(0)
	v_and_b32_e32 v0, -2.0, v12
	v_cmp_ne_u32_e32 vcc, 0, v0
	s_or_b64 s[4:5], vcc, s[4:5]
	s_andn2_b64 exec, exec, s[4:5]
	s_cbranch_execnz .LBB18_168
	s_branch .LBB18_163
.LBB18_169:                             ;   in Loop: Header=BB18_165 Depth=1
                                        ; implicit-def: $sgpr7
	s_and_b64 s[4:5], exec, s[2:3]
	s_or_b64 s[0:1], s[4:5], s[0:1]
	s_andn2_b64 exec, exec, s[0:1]
	s_cbranch_execnz .LBB18_165
.LBB18_170:
	s_or_b64 exec, exec, s[0:1]
	v_add_u32_e32 v0, v5, v32
	v_or_b32_e32 v0, 0x80000000, v0
	global_store_dword v[6:7], v0, off
	v_lshlrev_b32_e32 v33, 3, v2
	global_load_dwordx2 v[0:1], v33, s[64:65]
	v_sub_co_u32_e32 v6, vcc, v5, v4
	v_subb_co_u32_e64 v7, s[0:1], 0, 0, vcc
	s_movk_i32 s0, 0x7fff
	v_mad_i32_i24 v9, v2, -6, v33
	v_mov_b32_e32 v12, 0xffff8000
	v_lshlrev_b32_e32 v16, 1, v2
	v_mov_b32_e32 v8, s59
	v_mov_b32_e32 v21, s59
	;; [unrolled: 1-line block ×3, first 2 shown]
	s_lshl_b64 s[2:3], s[54:55], 3
	s_add_u32 s1, s60, s2
	s_addc_u32 s2, s61, s3
	v_mov_b32_e32 v66, s59
	s_add_i32 s8, s8, -1
	v_mov_b32_e32 v3, 0
	s_cmp_eq_u32 s6, s8
	v_mov_b32_e32 v5, v3
	s_waitcnt vmcnt(0)
	v_add_co_u32_e32 v0, vcc, v6, v0
	v_addc_co_u32_e32 v1, vcc, v7, v1, vcc
	ds_write_b64 v33, v[0:1]
	s_waitcnt lgkmcnt(0)
	s_barrier
	ds_read_u16 v0, v9 offset:2048
	ds_read_u16 v1, v16 offset:2560
	;; [unrolled: 1-line block ×7, first 2 shown]
	s_waitcnt lgkmcnt(6)
	v_cmp_ne_u16_e32 vcc, s0, v0
	v_cndmask_b32_e32 v7, v12, v0, vcc
	v_cmp_lt_i16_e32 vcc, -1, v0
	v_cndmask_b32_e64 v9, v12, -1, vcc
	s_waitcnt lgkmcnt(5)
	v_cmp_ne_u16_e32 vcc, s0, v1
	v_cndmask_b32_e32 v26, v12, v1, vcc
	v_cmp_lt_i16_e32 vcc, -1, v1
	v_cndmask_b32_e64 v27, v12, -1, vcc
	;; [unrolled: 5-line block ×3, first 2 shown]
	v_lshrrev_b32_sdwa v7, s68, v7 dst_sel:DWORD dst_unused:UNUSED_PAD src0_sel:DWORD src1_sel:WORD_0
	v_xor_b32_e32 v9, v9, v0
	v_lshrrev_b32_sdwa v0, s68, v26 dst_sel:DWORD dst_unused:UNUSED_PAD src0_sel:DWORD src1_sel:WORD_0
	v_xor_b32_e32 v37, v27, v1
	;; [unrolled: 2-line block ×3, first 2 shown]
	v_and_b32_e32 v6, s9, v7
	v_and_b32_e32 v0, s9, v0
	v_and_b32_e32 v1, s9, v1
	v_lshlrev_b32_e32 v55, 3, v6
	v_lshlrev_b32_e32 v56, 3, v0
	;; [unrolled: 1-line block ×3, first 2 shown]
	ds_read_b64 v[0:1], v55
	ds_read_u16 v6, v16 offset:3072
	ds_read_u16 v36, v16 offset:4096
	;; [unrolled: 1-line block ×5, first 2 shown]
	s_waitcnt lgkmcnt(4)
	v_cmp_ne_u16_e32 vcc, s0, v6
	v_cndmask_b32_e32 v7, v12, v6, vcc
	v_cmp_lt_i16_e32 vcc, -1, v6
	v_lshlrev_b64 v[0:1], 1, v[0:1]
	v_cndmask_b32_e64 v26, v12, -1, vcc
	s_waitcnt lgkmcnt(3)
	v_cmp_ne_u16_e32 vcc, s0, v36
	v_cndmask_b32_e32 v27, v12, v36, vcc
	v_add_co_u32_e32 v0, vcc, s58, v0
	v_addc_co_u32_e32 v1, vcc, v8, v1, vcc
	v_add_co_u32_e32 v0, vcc, v0, v16
	v_addc_co_u32_e32 v1, vcc, 0, v1, vcc
	global_store_short v[0:1], v9, off
	ds_read_b64 v[0:1], v56
	v_lshrrev_b32_sdwa v7, s68, v7 dst_sel:DWORD dst_unused:UNUSED_PAD src0_sel:DWORD src1_sel:WORD_0
	v_xor_b32_e32 v40, v26, v6
	v_lshrrev_b32_sdwa v6, s68, v27 dst_sel:DWORD dst_unused:UNUSED_PAD src0_sel:DWORD src1_sel:WORD_0
	v_and_b32_e32 v7, s9, v7
	s_waitcnt lgkmcnt(0)
	v_lshlrev_b64 v[0:1], 1, v[0:1]
	v_and_b32_e32 v6, s9, v6
	v_lshlrev_b32_e32 v59, 3, v7
	v_add_co_u32_e32 v0, vcc, s58, v0
	v_lshlrev_b32_e32 v60, 3, v6
	ds_read_b64 v[6:7], v59
	ds_read_b64 v[8:9], v57
	;; [unrolled: 1-line block ×3, first 2 shown]
	v_addc_co_u32_e32 v1, vcc, v21, v1, vcc
	v_add_co_u32_e32 v0, vcc, v0, v16
	v_addc_co_u32_e32 v1, vcc, 0, v1, vcc
	global_store_short v[0:1], v37, off offset:512
	s_waitcnt lgkmcnt(2)
	v_lshlrev_b64 v[0:1], 1, v[6:7]
	v_add_co_u32_e32 v0, vcc, s58, v0
	v_addc_co_u32_e32 v1, vcc, v24, v1, vcc
	v_add_co_u32_e32 v0, vcc, v0, v16
	s_waitcnt lgkmcnt(1)
	v_lshlrev_b64 v[6:7], 1, v[8:9]
	v_addc_co_u32_e32 v1, vcc, 0, v1, vcc
	global_store_short v[0:1], v40, off offset:1024
	v_mov_b32_e32 v0, s59
	v_add_co_u32_e32 v1, vcc, s58, v6
	v_addc_co_u32_e32 v6, vcc, v0, v7, vcc
	v_add_co_u32_e32 v0, vcc, v1, v16
	v_addc_co_u32_e32 v1, vcc, 0, v6, vcc
	v_cmp_lt_i16_e32 vcc, -1, v36
	global_store_short v[0:1], v35, off offset:1536
	v_cndmask_b32_e64 v0, v12, -1, vcc
	v_xor_b32_e32 v6, v0, v36
	s_waitcnt lgkmcnt(0)
	v_lshlrev_b64 v[0:1], 1, v[26:27]
	v_mov_b32_e32 v7, s59
	v_add_co_u32_e32 v0, vcc, s58, v0
	v_addc_co_u32_e32 v1, vcc, v7, v1, vcc
	v_add_co_u32_e32 v0, vcc, v0, v16
	v_addc_co_u32_e32 v1, vcc, 0, v1, vcc
	v_cmp_ne_u16_e32 vcc, s0, v29
	global_store_short v[0:1], v6, off offset:2048
	v_cndmask_b32_e32 v0, v12, v29, vcc
	v_lshrrev_b32_sdwa v0, s68, v0 dst_sel:DWORD dst_unused:UNUSED_PAD src0_sel:DWORD src1_sel:WORD_0
	v_cmp_lt_i16_e32 vcc, -1, v29
	v_and_b32_e32 v0, s9, v0
	v_cndmask_b32_e64 v1, v12, -1, vcc
	v_cmp_ne_u16_e32 vcc, s0, v38
	v_lshlrev_b32_e32 v24, 3, v0
	v_cndmask_b32_e32 v0, v12, v38, vcc
	v_lshrrev_b32_sdwa v0, s68, v0 dst_sel:DWORD dst_unused:UNUSED_PAD src0_sel:DWORD src1_sel:WORD_0
	v_and_b32_e32 v0, s9, v0
	v_cmp_ne_u16_e32 vcc, s0, v31
	v_xor_b32_e32 v21, v1, v29
	v_lshlrev_b32_e32 v29, 3, v0
	v_cndmask_b32_e32 v0, v12, v31, vcc
	v_lshrrev_b32_sdwa v0, s68, v0 dst_sel:DWORD dst_unused:UNUSED_PAD src0_sel:DWORD src1_sel:WORD_0
	v_and_b32_e32 v0, s9, v0
	v_cmp_ne_u16_e32 vcc, s0, v39
	v_lshlrev_b32_e32 v61, 3, v0
	v_cndmask_b32_e32 v0, v12, v39, vcc
	v_lshrrev_b32_sdwa v0, s68, v0 dst_sel:DWORD dst_unused:UNUSED_PAD src0_sel:DWORD src1_sel:WORD_0
	v_and_b32_e32 v6, s9, v0
	ds_read_b64 v[0:1], v24
	v_mov_b32_e32 v35, s59
	v_lshlrev_b32_e32 v62, 3, v6
	ds_read_b64 v[6:7], v29
	ds_read_b64 v[8:9], v61
	;; [unrolled: 1-line block ×3, first 2 shown]
	s_waitcnt lgkmcnt(3)
	v_lshlrev_b64 v[0:1], 1, v[0:1]
	v_add_co_u32_e32 v0, vcc, s58, v0
	v_addc_co_u32_e32 v1, vcc, v35, v1, vcc
	v_add_co_u32_e32 v0, vcc, v0, v16
	v_addc_co_u32_e32 v1, vcc, 0, v1, vcc
	v_cmp_lt_i16_e32 vcc, -1, v38
	global_store_short v[0:1], v21, off offset:2560
	v_cndmask_b32_e64 v0, v12, -1, vcc
	v_xor_b32_e32 v21, v0, v38
	s_waitcnt lgkmcnt(2)
	v_lshlrev_b64 v[0:1], 1, v[6:7]
	v_mov_b32_e32 v6, s59
	v_add_co_u32_e32 v0, vcc, s58, v0
	v_addc_co_u32_e32 v1, vcc, v6, v1, vcc
	v_add_co_u32_e32 v0, vcc, v0, v16
	v_addc_co_u32_e32 v1, vcc, 0, v1, vcc
	v_cmp_lt_i16_e32 vcc, -1, v31
	global_store_short v[0:1], v21, off offset:3072
	v_cndmask_b32_e64 v0, v12, -1, vcc
	v_xor_b32_e32 v6, v0, v31
	s_waitcnt lgkmcnt(1)
	v_lshlrev_b64 v[0:1], 1, v[8:9]
	v_mov_b32_e32 v7, s59
	v_add_co_u32_e32 v0, vcc, s58, v0
	v_addc_co_u32_e32 v1, vcc, v7, v1, vcc
	v_add_co_u32_e32 v0, vcc, v0, v16
	v_addc_co_u32_e32 v1, vcc, 0, v1, vcc
	v_cmp_lt_i16_e32 vcc, -1, v39
	global_store_short v[0:1], v6, off offset:3584
	v_cndmask_b32_e64 v0, v12, -1, vcc
	v_xor_b32_e32 v6, v0, v39
	s_waitcnt lgkmcnt(0)
	v_lshlrev_b64 v[0:1], 1, v[26:27]
	v_or_b32_e32 v16, 0x800, v2
	v_add_co_u32_e32 v0, vcc, s58, v0
	v_addc_co_u32_e32 v1, vcc, v7, v1, vcc
	v_lshlrev_b32_e32 v7, 1, v16
	v_add_co_u32_e32 v0, vcc, v0, v7
	v_addc_co_u32_e32 v1, vcc, 0, v1, vcc
	v_cmp_ne_u16_e32 vcc, s0, v34
	global_store_short v[0:1], v6, off
	v_cndmask_b32_e32 v0, v12, v34, vcc
	v_lshrrev_b32_sdwa v0, s68, v0 dst_sel:DWORD dst_unused:UNUSED_PAD src0_sel:DWORD src1_sel:WORD_0
	v_and_b32_e32 v26, s9, v0
	v_cmp_lt_i16_e32 vcc, -1, v34
	v_lshlrev_b32_e32 v0, 3, v11
	v_cndmask_b32_e64 v8, v12, -1, vcc
	v_mov_b32_e32 v1, s2
	v_add_co_u32_e32 v0, vcc, s1, v0
	v_addc_co_u32_e32 v1, vcc, 0, v1, vcc
	v_lshlrev_b32_e32 v6, 3, v10
	v_add_co_u32_e32 v0, vcc, v0, v6
	v_addc_co_u32_e32 v1, vcc, 0, v1, vcc
	global_load_dwordx2 v[6:7], v[0:1], off
	v_xor_b32_e32 v31, v8, v34
	global_load_dwordx2 v[8:9], v[0:1], off offset:512
	s_movk_i32 s1, 0x1000
	v_lshlrev_b32_e32 v63, 3, v26
	global_load_dwordx2 v[10:11], v[0:1], off offset:1024
	global_load_dwordx2 v[26:27], v[0:1], off offset:1536
	;; [unrolled: 1-line block ×6, first 2 shown]
	v_add_co_u32_e32 v0, vcc, s1, v0
	v_addc_co_u32_e32 v1, vcc, 0, v1, vcc
	global_load_dwordx2 v[42:43], v[0:1], off
	global_load_dwordx2 v[44:45], v[0:1], off offset:512
	v_cmp_ne_u16_e32 vcc, s0, v58
	v_cndmask_b32_e32 v46, v12, v58, vcc
	v_lshrrev_b32_sdwa v48, s68, v46 dst_sel:DWORD dst_unused:UNUSED_PAD src0_sel:DWORD src1_sel:WORD_0
	global_load_dwordx2 v[46:47], v[0:1], off offset:1024
	v_and_b32_e32 v48, s9, v48
	global_load_dwordx2 v[0:1], v[0:1], off offset:1536
	v_cmp_ne_u16_e32 vcc, s0, v54
	v_lshlrev_b32_e32 v64, 3, v48
	v_cndmask_b32_e32 v48, v12, v54, vcc
	v_lshrrev_b32_sdwa v50, s68, v48 dst_sel:DWORD dst_unused:UNUSED_PAD src0_sel:DWORD src1_sel:WORD_0
	ds_read_b64 v[48:49], v63
	v_add_u32_e32 v21, 0x900, v2
	v_and_b32_e32 v50, s9, v50
	v_lshlrev_b32_e32 v65, 3, v50
	ds_read_b64 v[50:51], v64
	ds_read_b64 v[52:53], v65
	s_waitcnt lgkmcnt(2)
	v_lshlrev_b64 v[48:49], 1, v[48:49]
	v_add_co_u32_e32 v48, vcc, s58, v48
	v_addc_co_u32_e32 v49, vcc, v66, v49, vcc
	v_lshlrev_b32_e32 v66, 1, v21
	v_add_co_u32_e32 v48, vcc, v48, v66
	v_addc_co_u32_e32 v49, vcc, 0, v49, vcc
	v_cmp_lt_i16_e32 vcc, -1, v58
	global_store_short v[48:49], v31, off
	v_cndmask_b32_e64 v48, v12, -1, vcc
	v_xor_b32_e32 v58, v48, v58
	s_waitcnt lgkmcnt(1)
	v_lshlrev_b64 v[48:49], 1, v[50:51]
	v_add_u32_e32 v31, 0xa00, v2
	v_mov_b32_e32 v50, s59
	v_add_co_u32_e32 v48, vcc, s58, v48
	v_addc_co_u32_e32 v49, vcc, v50, v49, vcc
	v_lshlrev_b32_e32 v50, 1, v31
	v_add_co_u32_e32 v48, vcc, v48, v50
	v_addc_co_u32_e32 v49, vcc, 0, v49, vcc
	global_store_short v[48:49], v58, off
	v_cmp_lt_i16_e32 vcc, -1, v54
	s_waitcnt lgkmcnt(0)
	v_lshlrev_b64 v[48:49], 1, v[52:53]
	v_add_u32_e32 v50, 0xb00, v2
	v_cndmask_b32_e64 v12, v12, -1, vcc
	v_mov_b32_e32 v51, s59
	v_add_co_u32_e32 v48, vcc, s58, v48
	v_addc_co_u32_e32 v49, vcc, v51, v49, vcc
	v_lshlrev_b32_e32 v51, 1, v50
	v_add_co_u32_e32 v48, vcc, v48, v51
	v_xor_b32_e32 v12, v12, v54
	v_addc_co_u32_e32 v49, vcc, 0, v49, vcc
	global_store_short v[48:49], v12, off
	v_lshlrev_b32_e32 v12, 3, v30
	s_barrier
	v_lshlrev_b32_e32 v16, 3, v16
	s_cselect_b64 s[0:1], -1, 0
	s_waitcnt vmcnt(14)
	ds_write_b64 v12, v[6:7] offset:2048
	v_lshlrev_b32_e32 v6, 3, v28
	s_waitcnt vmcnt(13)
	ds_write_b64 v6, v[8:9] offset:2048
	v_lshlrev_b32_e32 v6, 3, v25
	;; [unrolled: 3-line block ×11, first 2 shown]
	s_waitcnt vmcnt(3)
	ds_write_b64 v6, v[0:1] offset:2048
	s_waitcnt lgkmcnt(0)
	s_barrier
	ds_read_b64 v[0:1], v55
	ds_read2st64_b64 v[6:9], v33 offset0:4 offset1:8
	ds_read_b64 v[10:11], v56
	ds_read_b64 v[12:13], v59
	;; [unrolled: 1-line block ×3, first 2 shown]
	s_waitcnt lgkmcnt(4)
	v_lshlrev_b64 v[0:1], 3, v[0:1]
	v_mov_b32_e32 v17, s63
	v_add_co_u32_e32 v0, vcc, s62, v0
	v_addc_co_u32_e32 v1, vcc, v17, v1, vcc
	v_add_co_u32_e32 v0, vcc, v0, v33
	v_addc_co_u32_e32 v1, vcc, 0, v1, vcc
	s_waitcnt lgkmcnt(3)
	global_store_dwordx2 v[0:1], v[6:7], off
	s_waitcnt lgkmcnt(2)
	v_lshlrev_b64 v[0:1], 3, v[10:11]
	v_mov_b32_e32 v6, s63
	v_add_co_u32_e32 v0, vcc, s62, v0
	v_addc_co_u32_e32 v1, vcc, v6, v1, vcc
	v_add_co_u32_e32 v0, vcc, v0, v33
	v_addc_co_u32_e32 v1, vcc, 0, v1, vcc
	global_store_dwordx2 v[0:1], v[8:9], off offset:2048
	ds_read2st64_b64 v[6:9], v33 offset0:12 offset1:16
	s_waitcnt lgkmcnt(2)
	v_lshlrev_b64 v[0:1], 3, v[12:13]
	v_mov_b32_e32 v10, s63
	v_add_co_u32_e32 v0, vcc, s62, v0
	v_addc_co_u32_e32 v1, vcc, v10, v1, vcc
	v_add_u32_e32 v10, 0x1000, v33
	v_add_co_u32_e32 v0, vcc, v0, v10
	v_addc_co_u32_e32 v1, vcc, 0, v1, vcc
	s_waitcnt lgkmcnt(0)
	global_store_dwordx2 v[0:1], v[6:7], off
	v_lshlrev_b64 v[0:1], 3, v[14:15]
	v_mov_b32_e32 v6, s63
	v_add_co_u32_e32 v0, vcc, s62, v0
	v_addc_co_u32_e32 v1, vcc, v6, v1, vcc
	v_add_u32_e32 v6, 0x1800, v33
	v_add_co_u32_e32 v0, vcc, v0, v6
	v_addc_co_u32_e32 v1, vcc, 0, v1, vcc
	global_store_dwordx2 v[0:1], v[8:9], off
	ds_read_b64 v[0:1], v60
	ds_read2st64_b64 v[6:9], v33 offset0:20 offset1:24
	ds_read_b64 v[10:11], v24
	ds_read_b64 v[12:13], v29
	;; [unrolled: 1-line block ×3, first 2 shown]
	s_waitcnt lgkmcnt(4)
	v_lshlrev_b64 v[0:1], 3, v[0:1]
	v_add_co_u32_e32 v0, vcc, s62, v0
	v_addc_co_u32_e32 v1, vcc, v17, v1, vcc
	v_or_b32_e32 v17, 0x2000, v33
	v_add_co_u32_e32 v0, vcc, v0, v17
	v_addc_co_u32_e32 v1, vcc, 0, v1, vcc
	s_waitcnt lgkmcnt(3)
	global_store_dwordx2 v[0:1], v[6:7], off
	s_waitcnt lgkmcnt(2)
	v_lshlrev_b64 v[0:1], 3, v[10:11]
	v_mov_b32_e32 v6, s63
	v_add_co_u32_e32 v0, vcc, s62, v0
	v_addc_co_u32_e32 v1, vcc, v6, v1, vcc
	v_add_u32_e32 v6, 0x2800, v33
	v_add_co_u32_e32 v0, vcc, v0, v6
	v_addc_co_u32_e32 v1, vcc, 0, v1, vcc
	global_store_dwordx2 v[0:1], v[8:9], off
	ds_read2st64_b64 v[6:9], v33 offset0:28 offset1:32
	s_waitcnt lgkmcnt(2)
	v_lshlrev_b64 v[0:1], 3, v[12:13]
	v_mov_b32_e32 v10, s63
	v_add_co_u32_e32 v0, vcc, s62, v0
	v_addc_co_u32_e32 v1, vcc, v10, v1, vcc
	v_add_u32_e32 v10, 0x3000, v33
	v_add_co_u32_e32 v0, vcc, v0, v10
	v_addc_co_u32_e32 v1, vcc, 0, v1, vcc
	s_waitcnt lgkmcnt(0)
	global_store_dwordx2 v[0:1], v[6:7], off
	v_lshlrev_b64 v[0:1], 3, v[14:15]
	v_mov_b32_e32 v6, s63
	v_add_co_u32_e32 v0, vcc, s62, v0
	v_addc_co_u32_e32 v1, vcc, v6, v1, vcc
	v_add_u32_e32 v6, 0x3800, v33
	v_add_co_u32_e32 v0, vcc, v0, v6
	v_addc_co_u32_e32 v1, vcc, 0, v1, vcc
	global_store_dwordx2 v[0:1], v[8:9], off
	ds_read_b64 v[0:1], v62
	ds_read2st64_b64 v[6:9], v33 offset0:36 offset1:40
	ds_read_b64 v[10:11], v63
	ds_read_b64 v[12:13], v64
	;; [unrolled: 1-line block ×3, first 2 shown]
	s_waitcnt lgkmcnt(4)
	v_lshlrev_b64 v[0:1], 3, v[0:1]
	v_mov_b32_e32 v17, s63
	v_add_co_u32_e32 v0, vcc, s62, v0
	v_addc_co_u32_e32 v1, vcc, v17, v1, vcc
	v_add_co_u32_e32 v0, vcc, v0, v16
	v_addc_co_u32_e32 v1, vcc, 0, v1, vcc
	s_waitcnt lgkmcnt(3)
	global_store_dwordx2 v[0:1], v[6:7], off
	s_waitcnt lgkmcnt(2)
	v_lshlrev_b64 v[0:1], 3, v[10:11]
	v_mov_b32_e32 v6, s63
	v_add_co_u32_e32 v0, vcc, s62, v0
	v_addc_co_u32_e32 v1, vcc, v6, v1, vcc
	v_lshlrev_b32_e32 v6, 3, v21
	v_add_co_u32_e32 v0, vcc, v0, v6
	v_addc_co_u32_e32 v1, vcc, 0, v1, vcc
	global_store_dwordx2 v[0:1], v[8:9], off
	ds_read2st64_b64 v[6:9], v33 offset0:44 offset1:48
	s_waitcnt lgkmcnt(2)
	v_lshlrev_b64 v[0:1], 3, v[12:13]
	v_mov_b32_e32 v10, s63
	v_add_co_u32_e32 v0, vcc, s62, v0
	v_addc_co_u32_e32 v1, vcc, v10, v1, vcc
	v_lshlrev_b32_e32 v10, 3, v31
	v_add_co_u32_e32 v0, vcc, v0, v10
	v_addc_co_u32_e32 v1, vcc, 0, v1, vcc
	s_waitcnt lgkmcnt(0)
	global_store_dwordx2 v[0:1], v[6:7], off
	v_lshlrev_b64 v[0:1], 3, v[14:15]
	v_mov_b32_e32 v6, s63
	v_add_co_u32_e32 v0, vcc, s62, v0
	v_addc_co_u32_e32 v1, vcc, v6, v1, vcc
	v_lshlrev_b32_e32 v6, 3, v50
	v_add_co_u32_e32 v0, vcc, v0, v6
	v_addc_co_u32_e32 v1, vcc, 0, v1, vcc
	global_store_dwordx2 v[0:1], v[8:9], off
.LBB18_171:
	s_and_b64 vcc, exec, s[0:1]
	s_cbranch_vccnz .LBB18_173
; %bb.172:
	s_endpgm
.LBB18_173:
	v_lshlrev_b64 v[0:1], 3, v[2:3]
	ds_read_b64 v[2:3], v33
	v_add_co_u32_e32 v4, vcc, v4, v32
	v_addc_co_u32_e32 v5, vcc, 0, v5, vcc
	v_mov_b32_e32 v6, s67
	v_add_co_u32_e32 v0, vcc, s66, v0
	v_addc_co_u32_e32 v1, vcc, v6, v1, vcc
	s_waitcnt lgkmcnt(0)
	v_add_co_u32_e32 v2, vcc, v4, v2
	v_addc_co_u32_e32 v3, vcc, v5, v3, vcc
	global_store_dwordx2 v[0:1], v[2:3], off
	s_endpgm
.LBB18_174:
	global_load_dwordx2 v[6:7], v[30:31], off
	s_or_b64 exec, exec, s[52:53]
                                        ; implicit-def: $vgpr8_vgpr9
	s_and_saveexec_b64 s[52:53], s[0:1]
	s_cbranch_execz .LBB18_91
.LBB18_175:
	global_load_dwordx2 v[8:9], v[30:31], off offset:512
	s_or_b64 exec, exec, s[52:53]
                                        ; implicit-def: $vgpr10_vgpr11
	s_and_saveexec_b64 s[0:1], s[2:3]
	s_cbranch_execz .LBB18_92
.LBB18_176:
	global_load_dwordx2 v[10:11], v[30:31], off offset:1024
	s_or_b64 exec, exec, s[0:1]
                                        ; implicit-def: $vgpr12_vgpr13
	s_and_saveexec_b64 s[0:1], s[50:51]
	s_cbranch_execz .LBB18_93
.LBB18_177:
	global_load_dwordx2 v[12:13], v[30:31], off offset:1536
	s_or_b64 exec, exec, s[0:1]
                                        ; implicit-def: $vgpr14_vgpr15
	s_and_saveexec_b64 s[0:1], s[8:9]
	s_cbranch_execz .LBB18_94
.LBB18_178:
	global_load_dwordx2 v[14:15], v[30:31], off offset:2048
	s_or_b64 exec, exec, s[0:1]
                                        ; implicit-def: $vgpr16_vgpr17
	s_and_saveexec_b64 s[0:1], s[12:13]
	s_cbranch_execz .LBB18_95
.LBB18_179:
	global_load_dwordx2 v[16:17], v[30:31], off offset:2560
	s_or_b64 exec, exec, s[0:1]
                                        ; implicit-def: $vgpr18_vgpr19
	s_and_saveexec_b64 s[0:1], s[16:17]
	s_cbranch_execz .LBB18_96
.LBB18_180:
	global_load_dwordx2 v[18:19], v[30:31], off offset:3072
	s_or_b64 exec, exec, s[0:1]
                                        ; implicit-def: $vgpr20_vgpr21
	s_and_saveexec_b64 s[0:1], s[20:21]
	s_cbranch_execz .LBB18_97
.LBB18_181:
	global_load_dwordx2 v[20:21], v[30:31], off offset:3584
	s_or_b64 exec, exec, s[0:1]
                                        ; implicit-def: $vgpr22_vgpr23
	s_and_saveexec_b64 s[0:1], s[22:23]
	s_cbranch_execz .LBB18_98
.LBB18_182:
	v_add_co_u32_e32 v22, vcc, 0x1000, v30
	v_addc_co_u32_e32 v23, vcc, 0, v31, vcc
	global_load_dwordx2 v[22:23], v[22:23], off
	s_or_b64 exec, exec, s[0:1]
                                        ; implicit-def: $vgpr24_vgpr25
	s_and_saveexec_b64 s[0:1], s[18:19]
	s_cbranch_execz .LBB18_99
.LBB18_183:
	v_add_co_u32_e32 v24, vcc, 0x1000, v30
	v_addc_co_u32_e32 v25, vcc, 0, v31, vcc
	global_load_dwordx2 v[24:25], v[24:25], off offset:512
	s_or_b64 exec, exec, s[0:1]
                                        ; implicit-def: $vgpr26_vgpr27
	s_and_saveexec_b64 s[0:1], s[14:15]
	s_cbranch_execz .LBB18_100
.LBB18_184:
	v_add_co_u32_e32 v26, vcc, 0x1000, v30
	v_addc_co_u32_e32 v27, vcc, 0, v31, vcc
	global_load_dwordx2 v[26:27], v[26:27], off offset:1024
	s_or_b64 exec, exec, s[0:1]
                                        ; implicit-def: $vgpr28_vgpr29
	s_and_saveexec_b64 s[0:1], s[10:11]
	s_cbranch_execz .LBB18_101
.LBB18_185:
	v_add_co_u32_e32 v28, vcc, 0x1000, v30
	v_addc_co_u32_e32 v29, vcc, 0, v31, vcc
	global_load_dwordx2 v[28:29], v[28:29], off offset:1536
	s_or_b64 exec, exec, s[0:1]
                                        ; implicit-def: $vgpr65
	s_and_saveexec_b64 s[0:1], s[24:25]
	s_cbranch_execz .LBB18_102
.LBB18_186:
	v_lshlrev_b32_e32 v30, 1, v2
	ds_read_u16 v30, v30 offset:2048
	s_movk_i32 s2, 0x7fff
	v_mov_b32_e32 v31, 0xffff8000
	s_waitcnt lgkmcnt(0)
	v_cmp_ne_u16_e32 vcc, s2, v30
	v_cndmask_b32_e32 v30, v31, v30, vcc
	v_lshrrev_b32_sdwa v30, s68, v30 dst_sel:DWORD dst_unused:UNUSED_PAD src0_sel:DWORD src1_sel:WORD_0
	v_and_b32_e32 v65, s74, v30
	s_or_b64 exec, exec, s[0:1]
                                        ; implicit-def: $vgpr64
	s_and_saveexec_b64 s[0:1], s[26:27]
	s_cbranch_execz .LBB18_103
.LBB18_187:
	v_lshlrev_b32_e32 v30, 1, v2
	ds_read_u16 v30, v30 offset:2560
	s_movk_i32 s2, 0x7fff
	v_mov_b32_e32 v31, 0xffff8000
	s_waitcnt lgkmcnt(0)
	v_cmp_ne_u16_e32 vcc, s2, v30
	v_cndmask_b32_e32 v30, v31, v30, vcc
	v_lshrrev_b32_sdwa v30, s68, v30 dst_sel:DWORD dst_unused:UNUSED_PAD src0_sel:DWORD src1_sel:WORD_0
	v_and_b32_e32 v64, s74, v30
	s_or_b64 exec, exec, s[0:1]
                                        ; implicit-def: $vgpr63
	s_and_saveexec_b64 s[0:1], s[28:29]
	s_cbranch_execz .LBB18_104
.LBB18_188:
	v_lshlrev_b32_e32 v30, 1, v2
	ds_read_u16 v30, v30 offset:3072
	s_movk_i32 s2, 0x7fff
	v_mov_b32_e32 v31, 0xffff8000
	s_waitcnt lgkmcnt(0)
	v_cmp_ne_u16_e32 vcc, s2, v30
	v_cndmask_b32_e32 v30, v31, v30, vcc
	v_lshrrev_b32_sdwa v30, s68, v30 dst_sel:DWORD dst_unused:UNUSED_PAD src0_sel:DWORD src1_sel:WORD_0
	v_and_b32_e32 v63, s74, v30
	s_or_b64 exec, exec, s[0:1]
                                        ; implicit-def: $vgpr62
	s_and_saveexec_b64 s[0:1], s[30:31]
	s_cbranch_execz .LBB18_105
.LBB18_189:
	v_lshlrev_b32_e32 v30, 1, v2
	ds_read_u16 v30, v30 offset:3584
	s_movk_i32 s2, 0x7fff
	v_mov_b32_e32 v31, 0xffff8000
	s_waitcnt lgkmcnt(0)
	v_cmp_ne_u16_e32 vcc, s2, v30
	v_cndmask_b32_e32 v30, v31, v30, vcc
	v_lshrrev_b32_sdwa v30, s68, v30 dst_sel:DWORD dst_unused:UNUSED_PAD src0_sel:DWORD src1_sel:WORD_0
	v_and_b32_e32 v62, s74, v30
	s_or_b64 exec, exec, s[0:1]
                                        ; implicit-def: $vgpr61
	s_and_saveexec_b64 s[0:1], s[34:35]
	s_cbranch_execz .LBB18_106
.LBB18_190:
	v_lshlrev_b32_e32 v30, 1, v2
	ds_read_u16 v30, v30 offset:4096
	s_movk_i32 s2, 0x7fff
	v_mov_b32_e32 v31, 0xffff8000
	s_waitcnt lgkmcnt(0)
	v_cmp_ne_u16_e32 vcc, s2, v30
	v_cndmask_b32_e32 v30, v31, v30, vcc
	v_lshrrev_b32_sdwa v30, s68, v30 dst_sel:DWORD dst_unused:UNUSED_PAD src0_sel:DWORD src1_sel:WORD_0
	v_and_b32_e32 v61, s74, v30
	s_or_b64 exec, exec, s[0:1]
                                        ; implicit-def: $vgpr60
	s_and_saveexec_b64 s[0:1], s[36:37]
	s_cbranch_execz .LBB18_107
.LBB18_191:
	v_lshlrev_b32_e32 v30, 1, v2
	ds_read_u16 v30, v30 offset:4608
	s_movk_i32 s2, 0x7fff
	v_mov_b32_e32 v31, 0xffff8000
	s_waitcnt lgkmcnt(0)
	v_cmp_ne_u16_e32 vcc, s2, v30
	v_cndmask_b32_e32 v30, v31, v30, vcc
	v_lshrrev_b32_sdwa v30, s68, v30 dst_sel:DWORD dst_unused:UNUSED_PAD src0_sel:DWORD src1_sel:WORD_0
	v_and_b32_e32 v60, s74, v30
	s_or_b64 exec, exec, s[0:1]
                                        ; implicit-def: $vgpr59
	s_and_saveexec_b64 s[0:1], s[38:39]
	s_cbranch_execz .LBB18_108
.LBB18_192:
	v_lshlrev_b32_e32 v30, 1, v2
	ds_read_u16 v30, v30 offset:5120
	s_movk_i32 s2, 0x7fff
	v_mov_b32_e32 v31, 0xffff8000
	s_waitcnt lgkmcnt(0)
	v_cmp_ne_u16_e32 vcc, s2, v30
	v_cndmask_b32_e32 v30, v31, v30, vcc
	v_lshrrev_b32_sdwa v30, s68, v30 dst_sel:DWORD dst_unused:UNUSED_PAD src0_sel:DWORD src1_sel:WORD_0
	v_and_b32_e32 v59, s74, v30
	s_or_b64 exec, exec, s[0:1]
                                        ; implicit-def: $vgpr58
	s_and_saveexec_b64 s[0:1], s[40:41]
	s_cbranch_execz .LBB18_109
.LBB18_193:
	v_lshlrev_b32_e32 v30, 1, v2
	ds_read_u16 v30, v30 offset:5632
	s_movk_i32 s2, 0x7fff
	v_mov_b32_e32 v31, 0xffff8000
	s_waitcnt lgkmcnt(0)
	v_cmp_ne_u16_e32 vcc, s2, v30
	v_cndmask_b32_e32 v30, v31, v30, vcc
	v_lshrrev_b32_sdwa v30, s68, v30 dst_sel:DWORD dst_unused:UNUSED_PAD src0_sel:DWORD src1_sel:WORD_0
	v_and_b32_e32 v58, s74, v30
	s_or_b64 exec, exec, s[0:1]
                                        ; implicit-def: $vgpr57
	s_and_saveexec_b64 s[0:1], s[42:43]
	s_cbranch_execnz .LBB18_110
	s_branch .LBB18_111
.LBB18_194:
	v_lshlrev_b32_e32 v31, 1, v2
	ds_read_u16 v31, v31 offset:6656
	s_movk_i32 s2, 0x7fff
	v_mov_b32_e32 v56, 0xffff8000
	s_waitcnt lgkmcnt(0)
	v_cmp_ne_u16_e32 vcc, s2, v31
	v_cndmask_b32_e32 v31, v56, v31, vcc
	v_lshrrev_b32_sdwa v31, s68, v31 dst_sel:DWORD dst_unused:UNUSED_PAD src0_sel:DWORD src1_sel:WORD_0
	v_and_b32_e32 v56, s74, v31
	s_or_b64 exec, exec, s[0:1]
	s_and_saveexec_b64 s[0:1], s[46:47]
	s_cbranch_execz .LBB18_113
.LBB18_195:
	v_lshlrev_b32_e32 v30, 1, v2
	ds_read_u16 v30, v30 offset:7168
	s_movk_i32 s2, 0x7fff
	v_mov_b32_e32 v31, 0xffff8000
	s_waitcnt lgkmcnt(0)
	v_cmp_ne_u16_e32 vcc, s2, v30
	v_cndmask_b32_e32 v30, v31, v30, vcc
	v_lshrrev_b32_sdwa v30, s68, v30 dst_sel:DWORD dst_unused:UNUSED_PAD src0_sel:DWORD src1_sel:WORD_0
	v_and_b32_e32 v30, s74, v30
	s_or_b64 exec, exec, s[0:1]
	v_mov_b32_e32 v31, 0
	s_and_saveexec_b64 s[0:1], s[48:49]
	s_cbranch_execnz .LBB18_114
	s_branch .LBB18_115
.LBB18_196:
	v_lshlrev_b32_e32 v6, 3, v65
	ds_read_b64 v[6:7], v6
	ds_read_b64 v[8:9], v33 offset:2048
	v_mov_b32_e32 v10, s63
	s_waitcnt lgkmcnt(1)
	v_lshlrev_b64 v[6:7], 3, v[6:7]
	v_add_co_u32_e32 v6, vcc, s62, v6
	v_addc_co_u32_e32 v7, vcc, v10, v7, vcc
	v_add_co_u32_e32 v6, vcc, v6, v33
	v_addc_co_u32_e32 v7, vcc, 0, v7, vcc
	s_waitcnt lgkmcnt(0)
	global_store_dwordx2 v[6:7], v[8:9], off
	s_or_b64 exec, exec, s[0:1]
	s_and_saveexec_b64 s[0:1], s[26:27]
	s_cbranch_execz .LBB18_117
.LBB18_197:
	v_lshlrev_b32_e32 v6, 3, v64
	ds_read_b64 v[6:7], v6
	v_lshlrev_b32_e32 v10, 3, v2
	ds_read_b64 v[8:9], v10 offset:4096
	v_mov_b32_e32 v11, s63
	s_waitcnt lgkmcnt(1)
	v_lshlrev_b64 v[6:7], 3, v[6:7]
	v_add_co_u32_e32 v6, vcc, s62, v6
	v_addc_co_u32_e32 v7, vcc, v11, v7, vcc
	v_add_co_u32_e32 v6, vcc, v6, v10
	v_addc_co_u32_e32 v7, vcc, 0, v7, vcc
	s_waitcnt lgkmcnt(0)
	global_store_dwordx2 v[6:7], v[8:9], off offset:2048
	s_or_b64 exec, exec, s[0:1]
	s_and_saveexec_b64 s[0:1], s[28:29]
	s_cbranch_execz .LBB18_118
.LBB18_198:
	v_lshlrev_b32_e32 v6, 3, v63
	ds_read_b64 v[6:7], v6
	v_lshlrev_b32_e32 v8, 3, v2
	ds_read_b64 v[8:9], v8 offset:6144
	v_mov_b32_e32 v10, s63
	s_waitcnt lgkmcnt(1)
	v_lshlrev_b64 v[6:7], 3, v[6:7]
	v_add_co_u32_e32 v6, vcc, s62, v6
	v_addc_co_u32_e32 v7, vcc, v10, v7, vcc
	v_lshlrev_b32_e32 v10, 3, v46
	v_add_co_u32_e32 v6, vcc, v6, v10
	v_addc_co_u32_e32 v7, vcc, 0, v7, vcc
	s_waitcnt lgkmcnt(0)
	global_store_dwordx2 v[6:7], v[8:9], off
	s_or_b64 exec, exec, s[0:1]
	s_and_saveexec_b64 s[0:1], s[30:31]
	s_cbranch_execz .LBB18_119
.LBB18_199:
	v_lshlrev_b32_e32 v6, 3, v62
	ds_read_b64 v[6:7], v6
	v_lshlrev_b32_e32 v8, 3, v2
	ds_read_b64 v[8:9], v8 offset:8192
	v_mov_b32_e32 v10, s63
	s_waitcnt lgkmcnt(1)
	v_lshlrev_b64 v[6:7], 3, v[6:7]
	v_add_co_u32_e32 v6, vcc, s62, v6
	v_addc_co_u32_e32 v7, vcc, v10, v7, vcc
	v_lshlrev_b32_e32 v10, 3, v47
	v_add_co_u32_e32 v6, vcc, v6, v10
	v_addc_co_u32_e32 v7, vcc, 0, v7, vcc
	s_waitcnt lgkmcnt(0)
	global_store_dwordx2 v[6:7], v[8:9], off
	s_or_b64 exec, exec, s[0:1]
	s_and_saveexec_b64 s[0:1], s[34:35]
	s_cbranch_execz .LBB18_120
.LBB18_200:
	v_lshlrev_b32_e32 v6, 3, v61
	ds_read_b64 v[6:7], v6
	v_lshlrev_b32_e32 v8, 3, v2
	ds_read_b64 v[8:9], v8 offset:10240
	v_mov_b32_e32 v10, s63
	s_waitcnt lgkmcnt(1)
	v_lshlrev_b64 v[6:7], 3, v[6:7]
	v_add_co_u32_e32 v6, vcc, s62, v6
	v_addc_co_u32_e32 v7, vcc, v10, v7, vcc
	v_lshlrev_b32_e32 v10, 3, v48
	v_add_co_u32_e32 v6, vcc, v6, v10
	v_addc_co_u32_e32 v7, vcc, 0, v7, vcc
	s_waitcnt lgkmcnt(0)
	global_store_dwordx2 v[6:7], v[8:9], off
	s_or_b64 exec, exec, s[0:1]
	s_and_saveexec_b64 s[0:1], s[36:37]
	s_cbranch_execz .LBB18_121
.LBB18_201:
	v_lshlrev_b32_e32 v6, 3, v60
	ds_read_b64 v[6:7], v6
	v_lshlrev_b32_e32 v8, 3, v2
	ds_read_b64 v[8:9], v8 offset:12288
	v_mov_b32_e32 v10, s63
	s_waitcnt lgkmcnt(1)
	v_lshlrev_b64 v[6:7], 3, v[6:7]
	v_add_co_u32_e32 v6, vcc, s62, v6
	v_addc_co_u32_e32 v7, vcc, v10, v7, vcc
	v_lshlrev_b32_e32 v10, 3, v49
	v_add_co_u32_e32 v6, vcc, v6, v10
	v_addc_co_u32_e32 v7, vcc, 0, v7, vcc
	s_waitcnt lgkmcnt(0)
	global_store_dwordx2 v[6:7], v[8:9], off
	s_or_b64 exec, exec, s[0:1]
	s_and_saveexec_b64 s[0:1], s[38:39]
	s_cbranch_execz .LBB18_122
.LBB18_202:
	v_lshlrev_b32_e32 v6, 3, v59
	ds_read_b64 v[6:7], v6
	v_lshlrev_b32_e32 v8, 3, v2
	ds_read_b64 v[8:9], v8 offset:14336
	v_mov_b32_e32 v10, s63
	s_waitcnt lgkmcnt(1)
	v_lshlrev_b64 v[6:7], 3, v[6:7]
	v_add_co_u32_e32 v6, vcc, s62, v6
	v_addc_co_u32_e32 v7, vcc, v10, v7, vcc
	v_lshlrev_b32_e32 v10, 3, v50
	v_add_co_u32_e32 v6, vcc, v6, v10
	v_addc_co_u32_e32 v7, vcc, 0, v7, vcc
	s_waitcnt lgkmcnt(0)
	global_store_dwordx2 v[6:7], v[8:9], off
	s_or_b64 exec, exec, s[0:1]
	s_and_saveexec_b64 s[0:1], s[40:41]
	s_cbranch_execz .LBB18_123
.LBB18_203:
	v_lshlrev_b32_e32 v6, 3, v58
	ds_read_b64 v[6:7], v6
	v_lshlrev_b32_e32 v8, 3, v2
	ds_read_b64 v[8:9], v8 offset:16384
	v_mov_b32_e32 v10, s63
	s_waitcnt lgkmcnt(1)
	v_lshlrev_b64 v[6:7], 3, v[6:7]
	v_add_co_u32_e32 v6, vcc, s62, v6
	v_addc_co_u32_e32 v7, vcc, v10, v7, vcc
	v_lshlrev_b32_e32 v10, 3, v51
	v_add_co_u32_e32 v6, vcc, v6, v10
	v_addc_co_u32_e32 v7, vcc, 0, v7, vcc
	s_waitcnt lgkmcnt(0)
	global_store_dwordx2 v[6:7], v[8:9], off
	s_or_b64 exec, exec, s[0:1]
	s_and_saveexec_b64 s[0:1], s[42:43]
	s_cbranch_execz .LBB18_124
.LBB18_204:
	v_lshlrev_b32_e32 v6, 3, v57
	ds_read_b64 v[6:7], v6
	v_lshlrev_b32_e32 v8, 3, v2
	ds_read_b64 v[8:9], v8 offset:18432
	v_mov_b32_e32 v10, s63
	s_waitcnt lgkmcnt(1)
	v_lshlrev_b64 v[6:7], 3, v[6:7]
	v_add_co_u32_e32 v6, vcc, s62, v6
	v_addc_co_u32_e32 v7, vcc, v10, v7, vcc
	v_lshlrev_b32_e32 v10, 3, v52
	v_add_co_u32_e32 v6, vcc, v6, v10
	v_addc_co_u32_e32 v7, vcc, 0, v7, vcc
	s_waitcnt lgkmcnt(0)
	global_store_dwordx2 v[6:7], v[8:9], off
	s_or_b64 exec, exec, s[0:1]
	s_and_saveexec_b64 s[0:1], s[44:45]
	s_cbranch_execz .LBB18_125
.LBB18_205:
	v_lshlrev_b32_e32 v6, 3, v56
	ds_read_b64 v[6:7], v6
	v_lshlrev_b32_e32 v8, 3, v2
	ds_read_b64 v[8:9], v8 offset:20480
	v_mov_b32_e32 v10, s63
	s_waitcnt lgkmcnt(1)
	v_lshlrev_b64 v[6:7], 3, v[6:7]
	v_add_co_u32_e32 v6, vcc, s62, v6
	v_addc_co_u32_e32 v7, vcc, v10, v7, vcc
	v_lshlrev_b32_e32 v10, 3, v53
	v_add_co_u32_e32 v6, vcc, v6, v10
	v_addc_co_u32_e32 v7, vcc, 0, v7, vcc
	s_waitcnt lgkmcnt(0)
	global_store_dwordx2 v[6:7], v[8:9], off
	s_or_b64 exec, exec, s[0:1]
	s_and_saveexec_b64 s[0:1], s[46:47]
	s_cbranch_execz .LBB18_126
.LBB18_206:
	v_lshlrev_b32_e32 v6, 3, v30
	ds_read_b64 v[6:7], v6
	v_lshlrev_b32_e32 v8, 3, v2
	ds_read_b64 v[8:9], v8 offset:22528
	v_mov_b32_e32 v10, s63
	s_waitcnt lgkmcnt(1)
	v_lshlrev_b64 v[6:7], 3, v[6:7]
	v_add_co_u32_e32 v6, vcc, s62, v6
	v_addc_co_u32_e32 v7, vcc, v10, v7, vcc
	v_lshlrev_b32_e32 v10, 3, v54
	v_add_co_u32_e32 v6, vcc, v6, v10
	v_addc_co_u32_e32 v7, vcc, 0, v7, vcc
	s_waitcnt lgkmcnt(0)
	global_store_dwordx2 v[6:7], v[8:9], off
	s_or_b64 exec, exec, s[0:1]
	s_and_saveexec_b64 s[0:1], s[48:49]
	s_cbranch_execnz .LBB18_127
	s_branch .LBB18_128
	.section	.rodata,"a",@progbits
	.p2align	6, 0x0
	.amdhsa_kernel _ZN7rocprim17ROCPRIM_304000_NS6detail25onesweep_iteration_kernelINS1_34wrapped_radix_sort_onesweep_configINS0_14default_configE12hip_bfloat16N2at4cuda3cub6detail10OpaqueTypeILi8EEEEELb0EPKS5_PS5_PKSB_PSB_mNS0_19identity_decomposerEEEvT1_T2_T3_T4_jPT5_SP_PNS1_23onesweep_lookback_stateET6_jjj
		.amdhsa_group_segment_fixed_size 26624
		.amdhsa_private_segment_fixed_size 0
		.amdhsa_kernarg_size 336
		.amdhsa_user_sgpr_count 6
		.amdhsa_user_sgpr_private_segment_buffer 1
		.amdhsa_user_sgpr_dispatch_ptr 0
		.amdhsa_user_sgpr_queue_ptr 0
		.amdhsa_user_sgpr_kernarg_segment_ptr 1
		.amdhsa_user_sgpr_dispatch_id 0
		.amdhsa_user_sgpr_flat_scratch_init 0
		.amdhsa_user_sgpr_kernarg_preload_length 0
		.amdhsa_user_sgpr_kernarg_preload_offset 0
		.amdhsa_user_sgpr_private_segment_size 0
		.amdhsa_uses_dynamic_stack 0
		.amdhsa_system_sgpr_private_segment_wavefront_offset 0
		.amdhsa_system_sgpr_workgroup_id_x 1
		.amdhsa_system_sgpr_workgroup_id_y 0
		.amdhsa_system_sgpr_workgroup_id_z 0
		.amdhsa_system_sgpr_workgroup_info 0
		.amdhsa_system_vgpr_workitem_id 2
		.amdhsa_next_free_vgpr 67
		.amdhsa_next_free_sgpr 75
		.amdhsa_accum_offset 68
		.amdhsa_reserve_vcc 1
		.amdhsa_reserve_flat_scratch 0
		.amdhsa_float_round_mode_32 0
		.amdhsa_float_round_mode_16_64 0
		.amdhsa_float_denorm_mode_32 3
		.amdhsa_float_denorm_mode_16_64 3
		.amdhsa_dx10_clamp 1
		.amdhsa_ieee_mode 1
		.amdhsa_fp16_overflow 0
		.amdhsa_tg_split 0
		.amdhsa_exception_fp_ieee_invalid_op 0
		.amdhsa_exception_fp_denorm_src 0
		.amdhsa_exception_fp_ieee_div_zero 0
		.amdhsa_exception_fp_ieee_overflow 0
		.amdhsa_exception_fp_ieee_underflow 0
		.amdhsa_exception_fp_ieee_inexact 0
		.amdhsa_exception_int_div_zero 0
	.end_amdhsa_kernel
	.section	.text._ZN7rocprim17ROCPRIM_304000_NS6detail25onesweep_iteration_kernelINS1_34wrapped_radix_sort_onesweep_configINS0_14default_configE12hip_bfloat16N2at4cuda3cub6detail10OpaqueTypeILi8EEEEELb0EPKS5_PS5_PKSB_PSB_mNS0_19identity_decomposerEEEvT1_T2_T3_T4_jPT5_SP_PNS1_23onesweep_lookback_stateET6_jjj,"axG",@progbits,_ZN7rocprim17ROCPRIM_304000_NS6detail25onesweep_iteration_kernelINS1_34wrapped_radix_sort_onesweep_configINS0_14default_configE12hip_bfloat16N2at4cuda3cub6detail10OpaqueTypeILi8EEEEELb0EPKS5_PS5_PKSB_PSB_mNS0_19identity_decomposerEEEvT1_T2_T3_T4_jPT5_SP_PNS1_23onesweep_lookback_stateET6_jjj,comdat
.Lfunc_end18:
	.size	_ZN7rocprim17ROCPRIM_304000_NS6detail25onesweep_iteration_kernelINS1_34wrapped_radix_sort_onesweep_configINS0_14default_configE12hip_bfloat16N2at4cuda3cub6detail10OpaqueTypeILi8EEEEELb0EPKS5_PS5_PKSB_PSB_mNS0_19identity_decomposerEEEvT1_T2_T3_T4_jPT5_SP_PNS1_23onesweep_lookback_stateET6_jjj, .Lfunc_end18-_ZN7rocprim17ROCPRIM_304000_NS6detail25onesweep_iteration_kernelINS1_34wrapped_radix_sort_onesweep_configINS0_14default_configE12hip_bfloat16N2at4cuda3cub6detail10OpaqueTypeILi8EEEEELb0EPKS5_PS5_PKSB_PSB_mNS0_19identity_decomposerEEEvT1_T2_T3_T4_jPT5_SP_PNS1_23onesweep_lookback_stateET6_jjj
                                        ; -- End function
	.section	.AMDGPU.csdata,"",@progbits
; Kernel info:
; codeLenInByte = 21016
; NumSgprs: 79
; NumVgprs: 67
; NumAgprs: 0
; TotalNumVgprs: 67
; ScratchSize: 0
; MemoryBound: 0
; FloatMode: 240
; IeeeMode: 1
; LDSByteSize: 26624 bytes/workgroup (compile time only)
; SGPRBlocks: 9
; VGPRBlocks: 8
; NumSGPRsForWavesPerEU: 79
; NumVGPRsForWavesPerEU: 67
; AccumOffset: 68
; Occupancy: 2
; WaveLimiterHint : 1
; COMPUTE_PGM_RSRC2:SCRATCH_EN: 0
; COMPUTE_PGM_RSRC2:USER_SGPR: 6
; COMPUTE_PGM_RSRC2:TRAP_HANDLER: 0
; COMPUTE_PGM_RSRC2:TGID_X_EN: 1
; COMPUTE_PGM_RSRC2:TGID_Y_EN: 0
; COMPUTE_PGM_RSRC2:TGID_Z_EN: 0
; COMPUTE_PGM_RSRC2:TIDIG_COMP_CNT: 2
; COMPUTE_PGM_RSRC3_GFX90A:ACCUM_OFFSET: 16
; COMPUTE_PGM_RSRC3_GFX90A:TG_SPLIT: 0
	.section	.text._ZN7rocprim17ROCPRIM_304000_NS6detail25onesweep_iteration_kernelINS1_34wrapped_radix_sort_onesweep_configINS0_14default_configE12hip_bfloat16N2at4cuda3cub6detail10OpaqueTypeILi8EEEEELb0EPS5_SD_PSB_SE_mNS0_19identity_decomposerEEEvT1_T2_T3_T4_jPT5_SL_PNS1_23onesweep_lookback_stateET6_jjj,"axG",@progbits,_ZN7rocprim17ROCPRIM_304000_NS6detail25onesweep_iteration_kernelINS1_34wrapped_radix_sort_onesweep_configINS0_14default_configE12hip_bfloat16N2at4cuda3cub6detail10OpaqueTypeILi8EEEEELb0EPS5_SD_PSB_SE_mNS0_19identity_decomposerEEEvT1_T2_T3_T4_jPT5_SL_PNS1_23onesweep_lookback_stateET6_jjj,comdat
	.protected	_ZN7rocprim17ROCPRIM_304000_NS6detail25onesweep_iteration_kernelINS1_34wrapped_radix_sort_onesweep_configINS0_14default_configE12hip_bfloat16N2at4cuda3cub6detail10OpaqueTypeILi8EEEEELb0EPS5_SD_PSB_SE_mNS0_19identity_decomposerEEEvT1_T2_T3_T4_jPT5_SL_PNS1_23onesweep_lookback_stateET6_jjj ; -- Begin function _ZN7rocprim17ROCPRIM_304000_NS6detail25onesweep_iteration_kernelINS1_34wrapped_radix_sort_onesweep_configINS0_14default_configE12hip_bfloat16N2at4cuda3cub6detail10OpaqueTypeILi8EEEEELb0EPS5_SD_PSB_SE_mNS0_19identity_decomposerEEEvT1_T2_T3_T4_jPT5_SL_PNS1_23onesweep_lookback_stateET6_jjj
	.globl	_ZN7rocprim17ROCPRIM_304000_NS6detail25onesweep_iteration_kernelINS1_34wrapped_radix_sort_onesweep_configINS0_14default_configE12hip_bfloat16N2at4cuda3cub6detail10OpaqueTypeILi8EEEEELb0EPS5_SD_PSB_SE_mNS0_19identity_decomposerEEEvT1_T2_T3_T4_jPT5_SL_PNS1_23onesweep_lookback_stateET6_jjj
	.p2align	8
	.type	_ZN7rocprim17ROCPRIM_304000_NS6detail25onesweep_iteration_kernelINS1_34wrapped_radix_sort_onesweep_configINS0_14default_configE12hip_bfloat16N2at4cuda3cub6detail10OpaqueTypeILi8EEEEELb0EPS5_SD_PSB_SE_mNS0_19identity_decomposerEEEvT1_T2_T3_T4_jPT5_SL_PNS1_23onesweep_lookback_stateET6_jjj,@function
_ZN7rocprim17ROCPRIM_304000_NS6detail25onesweep_iteration_kernelINS1_34wrapped_radix_sort_onesweep_configINS0_14default_configE12hip_bfloat16N2at4cuda3cub6detail10OpaqueTypeILi8EEEEELb0EPS5_SD_PSB_SE_mNS0_19identity_decomposerEEEvT1_T2_T3_T4_jPT5_SL_PNS1_23onesweep_lookback_stateET6_jjj: ; @_ZN7rocprim17ROCPRIM_304000_NS6detail25onesweep_iteration_kernelINS1_34wrapped_radix_sort_onesweep_configINS0_14default_configE12hip_bfloat16N2at4cuda3cub6detail10OpaqueTypeILi8EEEEELb0EPS5_SD_PSB_SE_mNS0_19identity_decomposerEEEvT1_T2_T3_T4_jPT5_SL_PNS1_23onesweep_lookback_stateET6_jjj
; %bb.0:
	s_load_dwordx4 s[68:71], s[4:5], 0x44
	s_load_dwordx8 s[56:63], s[4:5], 0x0
	s_load_dwordx4 s[64:67], s[4:5], 0x28
	s_load_dwordx2 s[72:73], s[4:5], 0x38
	s_mov_b32 s7, s6
	s_waitcnt lgkmcnt(0)
	s_cmp_ge_u32 s6, s70
	s_mul_i32 s54, s6, 0xc00
	v_mbcnt_lo_u32_b32 v1, -1, 0
	s_cbranch_scc0 .LBB19_129
; %bb.1:
	s_load_dword s2, s[4:5], 0x20
	s_mulk_i32 s70, 0xf400
	s_mov_b32 s55, 0
	s_lshl_b64 s[0:1], s[54:55], 1
	v_and_b32_e32 v2, 0x3ff, v0
	s_waitcnt lgkmcnt(0)
	s_add_i32 s70, s70, s2
	s_add_u32 s0, s56, s0
	v_mbcnt_hi_u32_b32 v13, -1, v1
	s_addc_u32 s1, s57, s1
	v_and_b32_e32 v3, 0xc0, v2
	v_lshlrev_b32_e32 v4, 1, v13
	v_mul_u32_u24_e32 v12, 12, v3
	v_mov_b32_e32 v5, s1
	v_add_co_u32_e32 v4, vcc, s0, v4
	v_addc_co_u32_e32 v5, vcc, 0, v5, vcc
	v_lshlrev_b32_e32 v6, 1, v12
	v_add_co_u32_e32 v4, vcc, v4, v6
	v_addc_co_u32_e32 v5, vcc, 0, v5, vcc
	v_or_b32_e32 v7, v13, v12
	v_cmp_gt_u32_e32 vcc, s70, v7
	v_mov_b32_e32 v10, 0x7fff
	v_mov_b32_e32 v6, 0x7fff
	s_and_saveexec_b64 s[0:1], vcc
	s_cbranch_execz .LBB19_3
; %bb.2:
	global_load_ushort v6, v[4:5], off
.LBB19_3:
	s_or_b64 exec, exec, s[0:1]
	v_add_u32_e32 v8, 64, v7
	v_cmp_gt_u32_e64 s[0:1], s70, v8
	s_and_saveexec_b64 s[2:3], s[0:1]
	s_cbranch_execz .LBB19_5
; %bb.4:
	global_load_ushort v10, v[4:5], off offset:128
.LBB19_5:
	s_or_b64 exec, exec, s[2:3]
	v_add_u32_e32 v8, 0x80, v7
	v_cmp_gt_u32_e64 s[2:3], s70, v8
	v_mov_b32_e32 v24, 0x7fff
	v_mov_b32_e32 v19, 0x7fff
	s_and_saveexec_b64 s[8:9], s[2:3]
	s_cbranch_execz .LBB19_7
; %bb.6:
	global_load_ushort v19, v[4:5], off offset:256
.LBB19_7:
	s_or_b64 exec, exec, s[8:9]
	v_add_u32_e32 v8, 0xc0, v7
	v_cmp_gt_u32_e64 s[50:51], s70, v8
	s_and_saveexec_b64 s[8:9], s[50:51]
	s_cbranch_execz .LBB19_9
; %bb.8:
	global_load_ushort v24, v[4:5], off offset:384
.LBB19_9:
	s_or_b64 exec, exec, s[8:9]
	v_add_u32_e32 v8, 0x100, v7
	v_cmp_gt_u32_e64 s[8:9], s70, v8
	v_mov_b32_e32 v36, 0x7fff
	v_mov_b32_e32 v29, 0x7fff
	s_and_saveexec_b64 s[10:11], s[8:9]
	s_cbranch_execz .LBB19_11
; %bb.10:
	global_load_ushort v29, v[4:5], off offset:512
.LBB19_11:
	s_or_b64 exec, exec, s[10:11]
	v_add_u32_e32 v8, 0x140, v7
	v_cmp_gt_u32_e64 s[12:13], s70, v8
	s_and_saveexec_b64 s[10:11], s[12:13]
	s_cbranch_execz .LBB19_13
; %bb.12:
	global_load_ushort v36, v[4:5], off offset:640
.LBB19_13:
	s_or_b64 exec, exec, s[10:11]
	v_add_u32_e32 v8, 0x180, v7
	v_cmp_gt_u32_e64 s[16:17], s70, v8
	v_mov_b32_e32 v34, 0x7fff
	v_mov_b32_e32 v39, 0x7fff
	s_and_saveexec_b64 s[10:11], s[16:17]
	s_cbranch_execz .LBB19_15
; %bb.14:
	global_load_ushort v39, v[4:5], off offset:768
.LBB19_15:
	s_or_b64 exec, exec, s[10:11]
	v_add_u32_e32 v8, 0x1c0, v7
	v_cmp_gt_u32_e64 s[20:21], s70, v8
	s_and_saveexec_b64 s[10:11], s[20:21]
	s_cbranch_execz .LBB19_17
; %bb.16:
	global_load_ushort v34, v[4:5], off offset:896
.LBB19_17:
	s_or_b64 exec, exec, s[10:11]
	v_add_u32_e32 v8, 0x200, v7
	v_cmp_gt_u32_e64 s[22:23], s70, v8
	v_mov_b32_e32 v26, 0x7fff
	v_mov_b32_e32 v31, 0x7fff
	s_and_saveexec_b64 s[10:11], s[22:23]
	s_cbranch_execz .LBB19_19
; %bb.18:
	global_load_ushort v31, v[4:5], off offset:1024
.LBB19_19:
	s_or_b64 exec, exec, s[10:11]
	v_add_u32_e32 v8, 0x240, v7
	v_cmp_gt_u32_e64 s[18:19], s70, v8
	s_and_saveexec_b64 s[10:11], s[18:19]
	s_cbranch_execz .LBB19_21
; %bb.20:
	global_load_ushort v26, v[4:5], off offset:1152
.LBB19_21:
	s_or_b64 exec, exec, s[10:11]
	v_add_u32_e32 v8, 0x280, v7
	v_cmp_gt_u32_e64 s[14:15], s70, v8
	v_mov_b32_e32 v16, 0x7fff
	v_mov_b32_e32 v21, 0x7fff
	s_and_saveexec_b64 s[10:11], s[14:15]
	s_cbranch_execz .LBB19_23
; %bb.22:
	global_load_ushort v21, v[4:5], off offset:1280
.LBB19_23:
	s_or_b64 exec, exec, s[10:11]
	v_add_u32_e32 v7, 0x2c0, v7
	v_cmp_gt_u32_e64 s[10:11], s70, v7
	s_and_saveexec_b64 s[24:25], s[10:11]
	s_cbranch_execz .LBB19_25
; %bb.24:
	global_load_ushort v16, v[4:5], off offset:1408
.LBB19_25:
	s_or_b64 exec, exec, s[24:25]
	s_load_dword s24, s[4:5], 0x5c
	s_load_dword s33, s[4:5], 0x50
	s_add_u32 s25, s4, 0x50
	s_addc_u32 s26, s5, 0
	v_mov_b32_e32 v4, 0
	s_waitcnt lgkmcnt(0)
	s_lshr_b32 s27, s24, 16
	s_cmp_lt_u32 s6, s33
	s_cselect_b32 s24, 12, 18
	s_add_u32 s24, s25, s24
	s_addc_u32 s25, s26, 0
	global_load_ushort v7, v4, s[24:25]
	v_mov_b32_e32 v15, 0xffff8000
	s_waitcnt vmcnt(1)
	v_cmp_lt_i16_e64 s[24:25], -1, v6
	v_mul_u32_u24_e32 v8, 5, v2
	v_cndmask_b32_e64 v14, -1, v15, s[24:25]
	s_movk_i32 s28, 0x7fff
	v_lshlrev_b32_e32 v9, 2, v8
	v_xor_b32_e32 v8, v14, v6
	v_cmp_ne_u16_e64 s[24:25], s28, v8
	v_cndmask_b32_e64 v6, v15, v8, s[24:25]
	s_lshl_b32 s24, -1, s69
	v_lshrrev_b32_sdwa v6, s68, v6 dst_sel:DWORD dst_unused:UNUSED_PAD src0_sel:DWORD src1_sel:WORD_0
	s_not_b32 s74, s24
	v_and_b32_e32 v14, s74, v6
	v_and_b32_e32 v6, 1, v14
	v_bfe_u32 v5, v0, 10, 10
	v_bfe_u32 v11, v0, 20, 10
	v_add_co_u32_e64 v18, s[24:25], -1, v6
	v_mad_u32_u24 v11, v11, s27, v5
	v_lshlrev_b32_e32 v5, 30, v14
	v_addc_co_u32_e64 v20, s[24:25], 0, -1, s[24:25]
	v_cmp_ne_u32_e64 s[24:25], 0, v6
	v_cmp_gt_i64_e64 s[26:27], 0, v[4:5]
	v_not_b32_e32 v6, v5
	v_lshlrev_b32_e32 v5, 29, v14
	v_xor_b32_e32 v20, s25, v20
	v_xor_b32_e32 v18, s24, v18
	v_ashrrev_i32_e32 v6, 31, v6
	v_cmp_gt_i64_e64 s[24:25], 0, v[4:5]
	v_not_b32_e32 v22, v5
	v_lshlrev_b32_e32 v5, 28, v14
	v_and_b32_e32 v20, exec_hi, v20
	v_and_b32_e32 v18, exec_lo, v18
	v_xor_b32_e32 v23, s27, v6
	v_xor_b32_e32 v6, s26, v6
	v_ashrrev_i32_e32 v22, 31, v22
	v_cmp_gt_i64_e64 s[26:27], 0, v[4:5]
	v_not_b32_e32 v25, v5
	v_lshlrev_b32_e32 v5, 27, v14
	v_and_b32_e32 v20, v20, v23
	v_and_b32_e32 v6, v18, v6
	v_xor_b32_e32 v18, s25, v22
	v_xor_b32_e32 v22, s24, v22
	v_ashrrev_i32_e32 v23, 31, v25
	v_cmp_gt_i64_e64 s[24:25], 0, v[4:5]
	v_not_b32_e32 v25, v5
	v_lshlrev_b32_e32 v5, 26, v14
	v_and_b32_e32 v18, v20, v18
	v_and_b32_e32 v6, v6, v22
	v_xor_b32_e32 v20, s27, v23
	v_xor_b32_e32 v22, s26, v23
	v_ashrrev_i32_e32 v23, 31, v25
	v_not_b32_e32 v25, v5
	v_cmp_gt_i64_e64 s[26:27], 0, v[4:5]
	v_lshlrev_b32_e32 v5, 25, v14
	v_and_b32_e32 v18, v18, v20
	v_and_b32_e32 v6, v6, v22
	v_xor_b32_e32 v20, s25, v23
	v_xor_b32_e32 v22, s24, v23
	v_ashrrev_i32_e32 v23, 31, v25
	v_cmp_gt_i64_e64 s[24:25], 0, v[4:5]
	v_not_b32_e32 v5, v5
	v_and_b32_e32 v18, v18, v20
	v_and_b32_e32 v6, v6, v22
	v_xor_b32_e32 v20, s27, v23
	v_xor_b32_e32 v22, s26, v23
	v_ashrrev_i32_e32 v5, 31, v5
	v_and_b32_e32 v18, v18, v20
	v_and_b32_e32 v20, v6, v22
	v_mul_u32_u24_e32 v17, 5, v14
	v_xor_b32_e32 v22, s25, v5
	v_xor_b32_e32 v5, s24, v5
	ds_write2_b32 v9, v4, v4 offset0:4 offset1:5
	ds_write2_b32 v9, v4, v4 offset0:6 offset1:7
	ds_write_b32 v9, v4 offset:32
	s_waitcnt lgkmcnt(0)
	s_barrier
	s_waitcnt lgkmcnt(0)
	; wave barrier
	s_waitcnt vmcnt(0)
	v_mad_u64_u32 v[6:7], s[26:27], v11, v7, v[2:3]
	v_lshrrev_b32_e32 v23, 6, v6
	v_add_lshl_u32 v11, v23, v17, 2
	v_and_b32_e32 v17, v20, v5
	v_lshlrev_b32_e32 v5, 24, v14
	v_cmp_gt_i64_e64 s[24:25], 0, v[4:5]
	v_not_b32_e32 v5, v5
	v_ashrrev_i32_e32 v5, 31, v5
	v_and_b32_e32 v6, v18, v22
	v_xor_b32_e32 v7, s25, v5
	v_xor_b32_e32 v5, s24, v5
	v_and_b32_e32 v7, v6, v7
	v_and_b32_e32 v6, v17, v5
	v_mbcnt_lo_u32_b32 v5, v6, 0
	v_mbcnt_hi_u32_b32 v14, v7, v5
	v_cmp_eq_u32_e64 s[24:25], 0, v14
	v_cmp_ne_u64_e64 s[26:27], 0, v[6:7]
	s_and_b64 s[26:27], s[26:27], s[24:25]
	s_and_saveexec_b64 s[24:25], s[26:27]
	s_cbranch_execz .LBB19_27
; %bb.26:
	v_bcnt_u32_b32 v5, v6, 0
	v_bcnt_u32_b32 v5, v7, v5
	ds_write_b32 v11, v5 offset:16
.LBB19_27:
	s_or_b64 exec, exec, s[24:25]
	v_cmp_lt_i16_e64 s[24:25], -1, v10
	v_cndmask_b32_e64 v5, -1, v15, s[24:25]
	v_xor_b32_e32 v10, v5, v10
	v_cmp_ne_u16_e64 s[24:25], s28, v10
	v_cndmask_b32_e64 v5, v15, v10, s[24:25]
	v_lshrrev_b32_sdwa v5, s68, v5 dst_sel:DWORD dst_unused:UNUSED_PAD src0_sel:DWORD src1_sel:WORD_0
	v_and_b32_e32 v6, s74, v5
	v_mul_u32_u24_e32 v5, 5, v6
	v_add_lshl_u32 v17, v23, v5, 2
	v_and_b32_e32 v5, 1, v6
	v_add_co_u32_e64 v7, s[24:25], -1, v5
	v_addc_co_u32_e64 v18, s[24:25], 0, -1, s[24:25]
	v_cmp_ne_u32_e64 s[24:25], 0, v5
	v_xor_b32_e32 v5, s25, v18
	v_and_b32_e32 v18, exec_hi, v5
	v_lshlrev_b32_e32 v5, 30, v6
	v_xor_b32_e32 v7, s24, v7
	v_cmp_gt_i64_e64 s[24:25], 0, v[4:5]
	v_not_b32_e32 v5, v5
	v_ashrrev_i32_e32 v5, 31, v5
	v_and_b32_e32 v7, exec_lo, v7
	v_xor_b32_e32 v20, s25, v5
	v_xor_b32_e32 v5, s24, v5
	v_and_b32_e32 v7, v7, v5
	v_lshlrev_b32_e32 v5, 29, v6
	v_cmp_gt_i64_e64 s[24:25], 0, v[4:5]
	v_not_b32_e32 v5, v5
	v_ashrrev_i32_e32 v5, 31, v5
	v_and_b32_e32 v18, v18, v20
	v_xor_b32_e32 v20, s25, v5
	v_xor_b32_e32 v5, s24, v5
	v_and_b32_e32 v7, v7, v5
	v_lshlrev_b32_e32 v5, 28, v6
	v_cmp_gt_i64_e64 s[24:25], 0, v[4:5]
	v_not_b32_e32 v5, v5
	v_ashrrev_i32_e32 v5, 31, v5
	v_and_b32_e32 v18, v18, v20
	;; [unrolled: 8-line block ×5, first 2 shown]
	v_xor_b32_e32 v20, s25, v5
	v_xor_b32_e32 v5, s24, v5
	v_and_b32_e32 v7, v7, v5
	v_lshlrev_b32_e32 v5, 24, v6
	v_cmp_gt_i64_e64 s[24:25], 0, v[4:5]
	v_not_b32_e32 v4, v5
	v_ashrrev_i32_e32 v4, 31, v4
	v_xor_b32_e32 v5, s25, v4
	v_xor_b32_e32 v4, s24, v4
	; wave barrier
	ds_read_b32 v15, v17 offset:16
	v_and_b32_e32 v18, v18, v20
	v_and_b32_e32 v4, v7, v4
	;; [unrolled: 1-line block ×3, first 2 shown]
	v_mbcnt_lo_u32_b32 v6, v4, 0
	v_mbcnt_hi_u32_b32 v18, v5, v6
	v_cmp_eq_u32_e64 s[24:25], 0, v18
	v_cmp_ne_u64_e64 s[26:27], 0, v[4:5]
	s_and_b64 s[26:27], s[26:27], s[24:25]
	; wave barrier
	s_and_saveexec_b64 s[24:25], s[26:27]
	s_cbranch_execz .LBB19_29
; %bb.28:
	v_bcnt_u32_b32 v4, v4, 0
	v_bcnt_u32_b32 v4, v5, v4
	s_waitcnt lgkmcnt(0)
	v_add_u32_e32 v4, v15, v4
	ds_write_b32 v17, v4 offset:16
.LBB19_29:
	s_or_b64 exec, exec, s[24:25]
	v_mov_b32_e32 v27, 0xffff8000
	v_cmp_lt_i16_e64 s[24:25], -1, v19
	v_cndmask_b32_e64 v4, -1, v27, s[24:25]
	v_xor_b32_e32 v19, v4, v19
	v_cmp_ne_u16_e64 s[24:25], s28, v19
	v_cndmask_b32_e64 v4, v27, v19, s[24:25]
	v_lshrrev_b32_sdwa v4, s68, v4 dst_sel:DWORD dst_unused:UNUSED_PAD src0_sel:DWORD src1_sel:WORD_0
	v_and_b32_e32 v6, s74, v4
	v_and_b32_e32 v5, 1, v6
	v_add_co_u32_e64 v7, s[24:25], -1, v5
	v_addc_co_u32_e64 v25, s[24:25], 0, -1, s[24:25]
	v_cmp_ne_u32_e64 s[24:25], 0, v5
	v_mul_u32_u24_e32 v4, 5, v6
	v_xor_b32_e32 v5, s25, v25
	v_add_lshl_u32 v22, v23, v4, 2
	v_mov_b32_e32 v4, 0
	v_and_b32_e32 v25, exec_hi, v5
	v_lshlrev_b32_e32 v5, 30, v6
	v_xor_b32_e32 v7, s24, v7
	v_cmp_gt_i64_e64 s[24:25], 0, v[4:5]
	v_not_b32_e32 v5, v5
	v_ashrrev_i32_e32 v5, 31, v5
	v_and_b32_e32 v7, exec_lo, v7
	v_xor_b32_e32 v28, s25, v5
	v_xor_b32_e32 v5, s24, v5
	v_and_b32_e32 v7, v7, v5
	v_lshlrev_b32_e32 v5, 29, v6
	v_cmp_gt_i64_e64 s[24:25], 0, v[4:5]
	v_not_b32_e32 v5, v5
	v_ashrrev_i32_e32 v5, 31, v5
	v_and_b32_e32 v25, v25, v28
	v_xor_b32_e32 v28, s25, v5
	v_xor_b32_e32 v5, s24, v5
	v_and_b32_e32 v7, v7, v5
	v_lshlrev_b32_e32 v5, 28, v6
	v_cmp_gt_i64_e64 s[24:25], 0, v[4:5]
	v_not_b32_e32 v5, v5
	v_ashrrev_i32_e32 v5, 31, v5
	v_and_b32_e32 v25, v25, v28
	;; [unrolled: 8-line block ×5, first 2 shown]
	v_xor_b32_e32 v28, s25, v5
	v_xor_b32_e32 v5, s24, v5
	v_and_b32_e32 v25, v25, v28
	v_and_b32_e32 v28, v7, v5
	v_lshlrev_b32_e32 v5, 24, v6
	v_cmp_gt_i64_e64 s[24:25], 0, v[4:5]
	v_not_b32_e32 v5, v5
	v_ashrrev_i32_e32 v5, 31, v5
	v_xor_b32_e32 v6, s25, v5
	v_xor_b32_e32 v5, s24, v5
	; wave barrier
	ds_read_b32 v20, v22 offset:16
	v_and_b32_e32 v7, v25, v6
	v_and_b32_e32 v6, v28, v5
	v_mbcnt_lo_u32_b32 v5, v6, 0
	v_mbcnt_hi_u32_b32 v25, v7, v5
	v_cmp_eq_u32_e64 s[24:25], 0, v25
	v_cmp_ne_u64_e64 s[26:27], 0, v[6:7]
	s_and_b64 s[26:27], s[26:27], s[24:25]
	; wave barrier
	s_and_saveexec_b64 s[24:25], s[26:27]
	s_cbranch_execz .LBB19_31
; %bb.30:
	v_bcnt_u32_b32 v5, v6, 0
	v_bcnt_u32_b32 v5, v7, v5
	s_waitcnt lgkmcnt(0)
	v_add_u32_e32 v5, v20, v5
	ds_write_b32 v22, v5 offset:16
.LBB19_31:
	s_or_b64 exec, exec, s[24:25]
	v_cmp_lt_i16_e64 s[24:25], -1, v24
	v_cndmask_b32_e64 v5, -1, v27, s[24:25]
	v_xor_b32_e32 v24, v5, v24
	v_cmp_ne_u16_e64 s[24:25], s28, v24
	v_cndmask_b32_e64 v5, v27, v24, s[24:25]
	v_lshrrev_b32_sdwa v5, s68, v5 dst_sel:DWORD dst_unused:UNUSED_PAD src0_sel:DWORD src1_sel:WORD_0
	v_and_b32_e32 v6, s74, v5
	v_mul_u32_u24_e32 v5, 5, v6
	v_add_lshl_u32 v28, v23, v5, 2
	v_and_b32_e32 v5, 1, v6
	v_add_co_u32_e64 v7, s[24:25], -1, v5
	v_addc_co_u32_e64 v30, s[24:25], 0, -1, s[24:25]
	v_cmp_ne_u32_e64 s[24:25], 0, v5
	v_xor_b32_e32 v5, s25, v30
	v_and_b32_e32 v30, exec_hi, v5
	v_lshlrev_b32_e32 v5, 30, v6
	v_xor_b32_e32 v7, s24, v7
	v_cmp_gt_i64_e64 s[24:25], 0, v[4:5]
	v_not_b32_e32 v5, v5
	v_ashrrev_i32_e32 v5, 31, v5
	v_and_b32_e32 v7, exec_lo, v7
	v_xor_b32_e32 v32, s25, v5
	v_xor_b32_e32 v5, s24, v5
	v_and_b32_e32 v7, v7, v5
	v_lshlrev_b32_e32 v5, 29, v6
	v_cmp_gt_i64_e64 s[24:25], 0, v[4:5]
	v_not_b32_e32 v5, v5
	v_ashrrev_i32_e32 v5, 31, v5
	v_and_b32_e32 v30, v30, v32
	v_xor_b32_e32 v32, s25, v5
	v_xor_b32_e32 v5, s24, v5
	v_and_b32_e32 v7, v7, v5
	v_lshlrev_b32_e32 v5, 28, v6
	v_cmp_gt_i64_e64 s[24:25], 0, v[4:5]
	v_not_b32_e32 v5, v5
	v_ashrrev_i32_e32 v5, 31, v5
	v_and_b32_e32 v30, v30, v32
	;; [unrolled: 8-line block ×5, first 2 shown]
	v_xor_b32_e32 v32, s25, v5
	v_xor_b32_e32 v5, s24, v5
	v_and_b32_e32 v7, v7, v5
	v_lshlrev_b32_e32 v5, 24, v6
	v_cmp_gt_i64_e64 s[24:25], 0, v[4:5]
	v_not_b32_e32 v4, v5
	v_ashrrev_i32_e32 v4, 31, v4
	v_xor_b32_e32 v5, s25, v4
	v_xor_b32_e32 v4, s24, v4
	; wave barrier
	ds_read_b32 v27, v28 offset:16
	v_and_b32_e32 v30, v30, v32
	v_and_b32_e32 v4, v7, v4
	;; [unrolled: 1-line block ×3, first 2 shown]
	v_mbcnt_lo_u32_b32 v6, v4, 0
	v_mbcnt_hi_u32_b32 v30, v5, v6
	v_cmp_eq_u32_e64 s[24:25], 0, v30
	v_cmp_ne_u64_e64 s[26:27], 0, v[4:5]
	s_and_b64 s[26:27], s[26:27], s[24:25]
	; wave barrier
	s_and_saveexec_b64 s[24:25], s[26:27]
	s_cbranch_execz .LBB19_33
; %bb.32:
	v_bcnt_u32_b32 v4, v4, 0
	v_bcnt_u32_b32 v4, v5, v4
	s_waitcnt lgkmcnt(0)
	v_add_u32_e32 v4, v27, v4
	ds_write_b32 v28, v4 offset:16
.LBB19_33:
	s_or_b64 exec, exec, s[24:25]
	v_mov_b32_e32 v37, 0xffff8000
	v_cmp_lt_i16_e64 s[24:25], -1, v29
	v_cndmask_b32_e64 v4, -1, v37, s[24:25]
	v_xor_b32_e32 v29, v4, v29
	v_cmp_ne_u16_e64 s[24:25], s28, v29
	v_cndmask_b32_e64 v4, v37, v29, s[24:25]
	v_lshrrev_b32_sdwa v4, s68, v4 dst_sel:DWORD dst_unused:UNUSED_PAD src0_sel:DWORD src1_sel:WORD_0
	v_and_b32_e32 v6, s74, v4
	v_and_b32_e32 v5, 1, v6
	v_add_co_u32_e64 v7, s[24:25], -1, v5
	v_addc_co_u32_e64 v35, s[24:25], 0, -1, s[24:25]
	v_cmp_ne_u32_e64 s[24:25], 0, v5
	v_mul_u32_u24_e32 v4, 5, v6
	v_xor_b32_e32 v5, s25, v35
	v_add_lshl_u32 v33, v23, v4, 2
	v_mov_b32_e32 v4, 0
	v_and_b32_e32 v35, exec_hi, v5
	v_lshlrev_b32_e32 v5, 30, v6
	v_xor_b32_e32 v7, s24, v7
	v_cmp_gt_i64_e64 s[24:25], 0, v[4:5]
	v_not_b32_e32 v5, v5
	v_ashrrev_i32_e32 v5, 31, v5
	v_and_b32_e32 v7, exec_lo, v7
	v_xor_b32_e32 v38, s25, v5
	v_xor_b32_e32 v5, s24, v5
	v_and_b32_e32 v7, v7, v5
	v_lshlrev_b32_e32 v5, 29, v6
	v_cmp_gt_i64_e64 s[24:25], 0, v[4:5]
	v_not_b32_e32 v5, v5
	v_ashrrev_i32_e32 v5, 31, v5
	v_and_b32_e32 v35, v35, v38
	v_xor_b32_e32 v38, s25, v5
	v_xor_b32_e32 v5, s24, v5
	v_and_b32_e32 v7, v7, v5
	v_lshlrev_b32_e32 v5, 28, v6
	v_cmp_gt_i64_e64 s[24:25], 0, v[4:5]
	v_not_b32_e32 v5, v5
	v_ashrrev_i32_e32 v5, 31, v5
	v_and_b32_e32 v35, v35, v38
	;; [unrolled: 8-line block ×5, first 2 shown]
	v_xor_b32_e32 v38, s25, v5
	v_xor_b32_e32 v5, s24, v5
	v_and_b32_e32 v35, v35, v38
	v_and_b32_e32 v38, v7, v5
	v_lshlrev_b32_e32 v5, 24, v6
	v_cmp_gt_i64_e64 s[24:25], 0, v[4:5]
	v_not_b32_e32 v5, v5
	v_ashrrev_i32_e32 v5, 31, v5
	v_xor_b32_e32 v6, s25, v5
	v_xor_b32_e32 v5, s24, v5
	; wave barrier
	ds_read_b32 v32, v33 offset:16
	v_and_b32_e32 v7, v35, v6
	v_and_b32_e32 v6, v38, v5
	v_mbcnt_lo_u32_b32 v5, v6, 0
	v_mbcnt_hi_u32_b32 v35, v7, v5
	v_cmp_eq_u32_e64 s[24:25], 0, v35
	v_cmp_ne_u64_e64 s[26:27], 0, v[6:7]
	s_and_b64 s[26:27], s[26:27], s[24:25]
	; wave barrier
	s_and_saveexec_b64 s[24:25], s[26:27]
	s_cbranch_execz .LBB19_35
; %bb.34:
	v_bcnt_u32_b32 v5, v6, 0
	v_bcnt_u32_b32 v5, v7, v5
	s_waitcnt lgkmcnt(0)
	v_add_u32_e32 v5, v32, v5
	ds_write_b32 v33, v5 offset:16
.LBB19_35:
	s_or_b64 exec, exec, s[24:25]
	v_cmp_lt_i16_e64 s[24:25], -1, v36
	v_cndmask_b32_e64 v5, -1, v37, s[24:25]
	v_xor_b32_e32 v46, v5, v36
	v_cmp_ne_u16_e64 s[24:25], s28, v46
	v_cndmask_b32_e64 v5, v37, v46, s[24:25]
	v_lshrrev_b32_sdwa v5, s68, v5 dst_sel:DWORD dst_unused:UNUSED_PAD src0_sel:DWORD src1_sel:WORD_0
	v_and_b32_e32 v6, s74, v5
	v_mul_u32_u24_e32 v5, 5, v6
	v_add_lshl_u32 v37, v23, v5, 2
	v_and_b32_e32 v5, 1, v6
	v_add_co_u32_e64 v7, s[24:25], -1, v5
	v_addc_co_u32_e64 v38, s[24:25], 0, -1, s[24:25]
	v_cmp_ne_u32_e64 s[24:25], 0, v5
	v_xor_b32_e32 v5, s25, v38
	v_and_b32_e32 v38, exec_hi, v5
	v_lshlrev_b32_e32 v5, 30, v6
	v_xor_b32_e32 v7, s24, v7
	v_cmp_gt_i64_e64 s[24:25], 0, v[4:5]
	v_not_b32_e32 v5, v5
	v_ashrrev_i32_e32 v5, 31, v5
	v_and_b32_e32 v7, exec_lo, v7
	v_xor_b32_e32 v40, s25, v5
	v_xor_b32_e32 v5, s24, v5
	v_and_b32_e32 v7, v7, v5
	v_lshlrev_b32_e32 v5, 29, v6
	v_cmp_gt_i64_e64 s[24:25], 0, v[4:5]
	v_not_b32_e32 v5, v5
	v_ashrrev_i32_e32 v5, 31, v5
	v_and_b32_e32 v38, v38, v40
	v_xor_b32_e32 v40, s25, v5
	v_xor_b32_e32 v5, s24, v5
	v_and_b32_e32 v7, v7, v5
	v_lshlrev_b32_e32 v5, 28, v6
	v_cmp_gt_i64_e64 s[24:25], 0, v[4:5]
	v_not_b32_e32 v5, v5
	v_ashrrev_i32_e32 v5, 31, v5
	v_and_b32_e32 v38, v38, v40
	;; [unrolled: 8-line block ×5, first 2 shown]
	v_xor_b32_e32 v40, s25, v5
	v_xor_b32_e32 v5, s24, v5
	v_and_b32_e32 v7, v7, v5
	v_lshlrev_b32_e32 v5, 24, v6
	v_cmp_gt_i64_e64 s[24:25], 0, v[4:5]
	v_not_b32_e32 v4, v5
	v_ashrrev_i32_e32 v4, 31, v4
	v_xor_b32_e32 v5, s25, v4
	v_xor_b32_e32 v4, s24, v4
	; wave barrier
	ds_read_b32 v36, v37 offset:16
	v_and_b32_e32 v38, v38, v40
	v_and_b32_e32 v4, v7, v4
	;; [unrolled: 1-line block ×3, first 2 shown]
	v_mbcnt_lo_u32_b32 v6, v4, 0
	v_mbcnt_hi_u32_b32 v38, v5, v6
	v_cmp_eq_u32_e64 s[24:25], 0, v38
	v_cmp_ne_u64_e64 s[26:27], 0, v[4:5]
	s_and_b64 s[26:27], s[26:27], s[24:25]
	; wave barrier
	s_and_saveexec_b64 s[24:25], s[26:27]
	s_cbranch_execz .LBB19_37
; %bb.36:
	v_bcnt_u32_b32 v4, v4, 0
	v_bcnt_u32_b32 v4, v5, v4
	s_waitcnt lgkmcnt(0)
	v_add_u32_e32 v4, v36, v4
	ds_write_b32 v37, v4 offset:16
.LBB19_37:
	s_or_b64 exec, exec, s[24:25]
	v_mov_b32_e32 v41, 0xffff8000
	v_cmp_lt_i16_e64 s[24:25], -1, v39
	v_cndmask_b32_e64 v4, -1, v41, s[24:25]
	v_xor_b32_e32 v47, v4, v39
	v_cmp_ne_u16_e64 s[24:25], s28, v47
	v_cndmask_b32_e64 v4, v41, v47, s[24:25]
	v_lshrrev_b32_sdwa v4, s68, v4 dst_sel:DWORD dst_unused:UNUSED_PAD src0_sel:DWORD src1_sel:WORD_0
	v_and_b32_e32 v6, s74, v4
	v_and_b32_e32 v5, 1, v6
	v_add_co_u32_e64 v7, s[24:25], -1, v5
	v_addc_co_u32_e64 v42, s[24:25], 0, -1, s[24:25]
	v_cmp_ne_u32_e64 s[24:25], 0, v5
	v_mul_u32_u24_e32 v4, 5, v6
	v_xor_b32_e32 v5, s25, v42
	v_add_lshl_u32 v40, v23, v4, 2
	v_mov_b32_e32 v4, 0
	v_and_b32_e32 v42, exec_hi, v5
	v_lshlrev_b32_e32 v5, 30, v6
	v_xor_b32_e32 v7, s24, v7
	v_cmp_gt_i64_e64 s[24:25], 0, v[4:5]
	v_not_b32_e32 v5, v5
	v_ashrrev_i32_e32 v5, 31, v5
	v_and_b32_e32 v7, exec_lo, v7
	v_xor_b32_e32 v43, s25, v5
	v_xor_b32_e32 v5, s24, v5
	v_and_b32_e32 v7, v7, v5
	v_lshlrev_b32_e32 v5, 29, v6
	v_cmp_gt_i64_e64 s[24:25], 0, v[4:5]
	v_not_b32_e32 v5, v5
	v_ashrrev_i32_e32 v5, 31, v5
	v_and_b32_e32 v42, v42, v43
	v_xor_b32_e32 v43, s25, v5
	v_xor_b32_e32 v5, s24, v5
	v_and_b32_e32 v7, v7, v5
	v_lshlrev_b32_e32 v5, 28, v6
	v_cmp_gt_i64_e64 s[24:25], 0, v[4:5]
	v_not_b32_e32 v5, v5
	v_ashrrev_i32_e32 v5, 31, v5
	v_and_b32_e32 v42, v42, v43
	;; [unrolled: 8-line block ×5, first 2 shown]
	v_xor_b32_e32 v43, s25, v5
	v_xor_b32_e32 v5, s24, v5
	v_and_b32_e32 v42, v42, v43
	v_and_b32_e32 v43, v7, v5
	v_lshlrev_b32_e32 v5, 24, v6
	v_cmp_gt_i64_e64 s[24:25], 0, v[4:5]
	v_not_b32_e32 v5, v5
	v_ashrrev_i32_e32 v5, 31, v5
	v_xor_b32_e32 v6, s25, v5
	v_xor_b32_e32 v5, s24, v5
	; wave barrier
	ds_read_b32 v39, v40 offset:16
	v_and_b32_e32 v7, v42, v6
	v_and_b32_e32 v6, v43, v5
	v_mbcnt_lo_u32_b32 v5, v6, 0
	v_mbcnt_hi_u32_b32 v49, v7, v5
	v_cmp_eq_u32_e64 s[24:25], 0, v49
	v_cmp_ne_u64_e64 s[26:27], 0, v[6:7]
	s_and_b64 s[26:27], s[26:27], s[24:25]
	; wave barrier
	s_and_saveexec_b64 s[24:25], s[26:27]
	s_cbranch_execz .LBB19_39
; %bb.38:
	v_bcnt_u32_b32 v5, v6, 0
	v_bcnt_u32_b32 v5, v7, v5
	s_waitcnt lgkmcnt(0)
	v_add_u32_e32 v5, v39, v5
	ds_write_b32 v40, v5 offset:16
.LBB19_39:
	s_or_b64 exec, exec, s[24:25]
	v_cmp_lt_i16_e64 s[24:25], -1, v34
	v_cndmask_b32_e64 v5, -1, v41, s[24:25]
	v_xor_b32_e32 v48, v5, v34
	v_cmp_ne_u16_e64 s[24:25], s28, v48
	v_cndmask_b32_e64 v5, v41, v48, s[24:25]
	v_lshrrev_b32_sdwa v5, s68, v5 dst_sel:DWORD dst_unused:UNUSED_PAD src0_sel:DWORD src1_sel:WORD_0
	v_and_b32_e32 v6, s74, v5
	v_mul_u32_u24_e32 v5, 5, v6
	v_add_lshl_u32 v41, v23, v5, 2
	v_and_b32_e32 v5, 1, v6
	v_add_co_u32_e64 v7, s[24:25], -1, v5
	v_addc_co_u32_e64 v42, s[24:25], 0, -1, s[24:25]
	v_cmp_ne_u32_e64 s[24:25], 0, v5
	v_xor_b32_e32 v5, s25, v42
	v_and_b32_e32 v42, exec_hi, v5
	v_lshlrev_b32_e32 v5, 30, v6
	v_xor_b32_e32 v7, s24, v7
	v_cmp_gt_i64_e64 s[24:25], 0, v[4:5]
	v_not_b32_e32 v5, v5
	v_ashrrev_i32_e32 v5, 31, v5
	v_and_b32_e32 v7, exec_lo, v7
	v_xor_b32_e32 v43, s25, v5
	v_xor_b32_e32 v5, s24, v5
	v_and_b32_e32 v7, v7, v5
	v_lshlrev_b32_e32 v5, 29, v6
	v_cmp_gt_i64_e64 s[24:25], 0, v[4:5]
	v_not_b32_e32 v5, v5
	v_ashrrev_i32_e32 v5, 31, v5
	v_and_b32_e32 v42, v42, v43
	v_xor_b32_e32 v43, s25, v5
	v_xor_b32_e32 v5, s24, v5
	v_and_b32_e32 v7, v7, v5
	v_lshlrev_b32_e32 v5, 28, v6
	v_cmp_gt_i64_e64 s[24:25], 0, v[4:5]
	v_not_b32_e32 v5, v5
	v_ashrrev_i32_e32 v5, 31, v5
	v_and_b32_e32 v42, v42, v43
	;; [unrolled: 8-line block ×5, first 2 shown]
	v_xor_b32_e32 v43, s25, v5
	v_xor_b32_e32 v5, s24, v5
	v_and_b32_e32 v7, v7, v5
	v_lshlrev_b32_e32 v5, 24, v6
	v_cmp_gt_i64_e64 s[24:25], 0, v[4:5]
	v_not_b32_e32 v4, v5
	v_ashrrev_i32_e32 v4, 31, v4
	v_xor_b32_e32 v5, s25, v4
	v_xor_b32_e32 v4, s24, v4
	; wave barrier
	ds_read_b32 v34, v41 offset:16
	v_and_b32_e32 v42, v42, v43
	v_and_b32_e32 v4, v7, v4
	;; [unrolled: 1-line block ×3, first 2 shown]
	v_mbcnt_lo_u32_b32 v6, v4, 0
	v_mbcnt_hi_u32_b32 v50, v5, v6
	v_cmp_eq_u32_e64 s[24:25], 0, v50
	v_cmp_ne_u64_e64 s[26:27], 0, v[4:5]
	s_and_b64 s[26:27], s[26:27], s[24:25]
	; wave barrier
	s_and_saveexec_b64 s[24:25], s[26:27]
	s_cbranch_execz .LBB19_41
; %bb.40:
	v_bcnt_u32_b32 v4, v4, 0
	v_bcnt_u32_b32 v4, v5, v4
	s_waitcnt lgkmcnt(0)
	v_add_u32_e32 v4, v34, v4
	ds_write_b32 v41, v4 offset:16
.LBB19_41:
	s_or_b64 exec, exec, s[24:25]
	v_mov_b32_e32 v43, 0xffff8000
	v_cmp_lt_i16_e64 s[24:25], -1, v31
	v_cndmask_b32_e64 v4, -1, v43, s[24:25]
	v_xor_b32_e32 v31, v4, v31
	v_cmp_ne_u16_e64 s[24:25], s28, v31
	v_cndmask_b32_e64 v4, v43, v31, s[24:25]
	v_lshrrev_b32_sdwa v4, s68, v4 dst_sel:DWORD dst_unused:UNUSED_PAD src0_sel:DWORD src1_sel:WORD_0
	v_and_b32_e32 v6, s74, v4
	v_and_b32_e32 v5, 1, v6
	v_add_co_u32_e64 v7, s[24:25], -1, v5
	v_addc_co_u32_e64 v44, s[24:25], 0, -1, s[24:25]
	v_cmp_ne_u32_e64 s[24:25], 0, v5
	v_mul_u32_u24_e32 v4, 5, v6
	v_xor_b32_e32 v5, s25, v44
	v_add_lshl_u32 v42, v23, v4, 2
	v_mov_b32_e32 v4, 0
	v_and_b32_e32 v44, exec_hi, v5
	v_lshlrev_b32_e32 v5, 30, v6
	v_xor_b32_e32 v7, s24, v7
	v_cmp_gt_i64_e64 s[24:25], 0, v[4:5]
	v_not_b32_e32 v5, v5
	v_ashrrev_i32_e32 v5, 31, v5
	v_and_b32_e32 v7, exec_lo, v7
	v_xor_b32_e32 v45, s25, v5
	v_xor_b32_e32 v5, s24, v5
	v_and_b32_e32 v7, v7, v5
	v_lshlrev_b32_e32 v5, 29, v6
	v_cmp_gt_i64_e64 s[24:25], 0, v[4:5]
	v_not_b32_e32 v5, v5
	v_ashrrev_i32_e32 v5, 31, v5
	v_and_b32_e32 v44, v44, v45
	v_xor_b32_e32 v45, s25, v5
	v_xor_b32_e32 v5, s24, v5
	v_and_b32_e32 v7, v7, v5
	v_lshlrev_b32_e32 v5, 28, v6
	v_cmp_gt_i64_e64 s[24:25], 0, v[4:5]
	v_not_b32_e32 v5, v5
	v_ashrrev_i32_e32 v5, 31, v5
	v_and_b32_e32 v44, v44, v45
	;; [unrolled: 8-line block ×5, first 2 shown]
	v_xor_b32_e32 v45, s25, v5
	v_xor_b32_e32 v5, s24, v5
	v_and_b32_e32 v44, v44, v45
	v_and_b32_e32 v45, v7, v5
	v_lshlrev_b32_e32 v5, 24, v6
	v_cmp_gt_i64_e64 s[24:25], 0, v[4:5]
	v_not_b32_e32 v5, v5
	v_ashrrev_i32_e32 v5, 31, v5
	v_xor_b32_e32 v6, s25, v5
	v_xor_b32_e32 v5, s24, v5
	; wave barrier
	ds_read_b32 v51, v42 offset:16
	v_and_b32_e32 v7, v44, v6
	v_and_b32_e32 v6, v45, v5
	v_mbcnt_lo_u32_b32 v5, v6, 0
	v_mbcnt_hi_u32_b32 v52, v7, v5
	v_cmp_eq_u32_e64 s[24:25], 0, v52
	v_cmp_ne_u64_e64 s[26:27], 0, v[6:7]
	s_and_b64 s[26:27], s[26:27], s[24:25]
	; wave barrier
	s_and_saveexec_b64 s[24:25], s[26:27]
	s_cbranch_execz .LBB19_43
; %bb.42:
	v_bcnt_u32_b32 v5, v6, 0
	v_bcnt_u32_b32 v5, v7, v5
	s_waitcnt lgkmcnt(0)
	v_add_u32_e32 v5, v51, v5
	ds_write_b32 v42, v5 offset:16
.LBB19_43:
	s_or_b64 exec, exec, s[24:25]
	v_cmp_lt_i16_e64 s[24:25], -1, v26
	v_cndmask_b32_e64 v5, -1, v43, s[24:25]
	v_xor_b32_e32 v26, v5, v26
	v_cmp_ne_u16_e64 s[24:25], s28, v26
	v_cndmask_b32_e64 v5, v43, v26, s[24:25]
	v_lshrrev_b32_sdwa v5, s68, v5 dst_sel:DWORD dst_unused:UNUSED_PAD src0_sel:DWORD src1_sel:WORD_0
	v_and_b32_e32 v6, s74, v5
	v_mul_u32_u24_e32 v5, 5, v6
	v_add_lshl_u32 v43, v23, v5, 2
	v_and_b32_e32 v5, 1, v6
	v_add_co_u32_e64 v7, s[24:25], -1, v5
	v_addc_co_u32_e64 v44, s[24:25], 0, -1, s[24:25]
	v_cmp_ne_u32_e64 s[24:25], 0, v5
	v_xor_b32_e32 v5, s25, v44
	v_and_b32_e32 v44, exec_hi, v5
	v_lshlrev_b32_e32 v5, 30, v6
	v_xor_b32_e32 v7, s24, v7
	v_cmp_gt_i64_e64 s[24:25], 0, v[4:5]
	v_not_b32_e32 v5, v5
	v_ashrrev_i32_e32 v5, 31, v5
	v_and_b32_e32 v7, exec_lo, v7
	v_xor_b32_e32 v45, s25, v5
	v_xor_b32_e32 v5, s24, v5
	v_and_b32_e32 v7, v7, v5
	v_lshlrev_b32_e32 v5, 29, v6
	v_cmp_gt_i64_e64 s[24:25], 0, v[4:5]
	v_not_b32_e32 v5, v5
	v_ashrrev_i32_e32 v5, 31, v5
	v_and_b32_e32 v44, v44, v45
	v_xor_b32_e32 v45, s25, v5
	v_xor_b32_e32 v5, s24, v5
	v_and_b32_e32 v7, v7, v5
	v_lshlrev_b32_e32 v5, 28, v6
	v_cmp_gt_i64_e64 s[24:25], 0, v[4:5]
	v_not_b32_e32 v5, v5
	v_ashrrev_i32_e32 v5, 31, v5
	v_and_b32_e32 v44, v44, v45
	;; [unrolled: 8-line block ×5, first 2 shown]
	v_xor_b32_e32 v45, s25, v5
	v_xor_b32_e32 v5, s24, v5
	v_and_b32_e32 v7, v7, v5
	v_lshlrev_b32_e32 v5, 24, v6
	v_cmp_gt_i64_e64 s[24:25], 0, v[4:5]
	v_not_b32_e32 v4, v5
	v_ashrrev_i32_e32 v4, 31, v4
	v_xor_b32_e32 v5, s25, v4
	v_xor_b32_e32 v4, s24, v4
	; wave barrier
	ds_read_b32 v53, v43 offset:16
	v_and_b32_e32 v44, v44, v45
	v_and_b32_e32 v4, v7, v4
	;; [unrolled: 1-line block ×3, first 2 shown]
	v_mbcnt_lo_u32_b32 v6, v4, 0
	v_mbcnt_hi_u32_b32 v54, v5, v6
	v_cmp_eq_u32_e64 s[24:25], 0, v54
	v_cmp_ne_u64_e64 s[26:27], 0, v[4:5]
	s_and_b64 s[26:27], s[26:27], s[24:25]
	; wave barrier
	s_and_saveexec_b64 s[24:25], s[26:27]
	s_cbranch_execz .LBB19_45
; %bb.44:
	v_bcnt_u32_b32 v4, v4, 0
	v_bcnt_u32_b32 v4, v5, v4
	s_waitcnt lgkmcnt(0)
	v_add_u32_e32 v4, v53, v4
	ds_write_b32 v43, v4 offset:16
.LBB19_45:
	s_or_b64 exec, exec, s[24:25]
	v_mov_b32_e32 v45, 0xffff8000
	v_cmp_lt_i16_e64 s[24:25], -1, v21
	v_cndmask_b32_e64 v4, -1, v45, s[24:25]
	v_xor_b32_e32 v21, v4, v21
	v_cmp_ne_u16_e64 s[24:25], s28, v21
	v_cndmask_b32_e64 v4, v45, v21, s[24:25]
	v_lshrrev_b32_sdwa v4, s68, v4 dst_sel:DWORD dst_unused:UNUSED_PAD src0_sel:DWORD src1_sel:WORD_0
	v_and_b32_e32 v6, s74, v4
	v_and_b32_e32 v5, 1, v6
	v_add_co_u32_e64 v7, s[24:25], -1, v5
	v_addc_co_u32_e64 v56, s[24:25], 0, -1, s[24:25]
	v_cmp_ne_u32_e64 s[24:25], 0, v5
	v_mul_u32_u24_e32 v4, 5, v6
	v_xor_b32_e32 v5, s25, v56
	v_add_lshl_u32 v44, v23, v4, 2
	v_mov_b32_e32 v4, 0
	v_and_b32_e32 v56, exec_hi, v5
	v_lshlrev_b32_e32 v5, 30, v6
	v_xor_b32_e32 v7, s24, v7
	v_cmp_gt_i64_e64 s[24:25], 0, v[4:5]
	v_not_b32_e32 v5, v5
	v_ashrrev_i32_e32 v5, 31, v5
	v_and_b32_e32 v7, exec_lo, v7
	v_xor_b32_e32 v57, s25, v5
	v_xor_b32_e32 v5, s24, v5
	v_and_b32_e32 v7, v7, v5
	v_lshlrev_b32_e32 v5, 29, v6
	v_cmp_gt_i64_e64 s[24:25], 0, v[4:5]
	v_not_b32_e32 v5, v5
	v_ashrrev_i32_e32 v5, 31, v5
	v_and_b32_e32 v56, v56, v57
	v_xor_b32_e32 v57, s25, v5
	v_xor_b32_e32 v5, s24, v5
	v_and_b32_e32 v7, v7, v5
	v_lshlrev_b32_e32 v5, 28, v6
	v_cmp_gt_i64_e64 s[24:25], 0, v[4:5]
	v_not_b32_e32 v5, v5
	v_ashrrev_i32_e32 v5, 31, v5
	v_and_b32_e32 v56, v56, v57
	v_xor_b32_e32 v57, s25, v5
	v_xor_b32_e32 v5, s24, v5
	v_and_b32_e32 v7, v7, v5
	v_lshlrev_b32_e32 v5, 27, v6
	v_cmp_gt_i64_e64 s[24:25], 0, v[4:5]
	v_not_b32_e32 v5, v5
	v_ashrrev_i32_e32 v5, 31, v5
	v_and_b32_e32 v56, v56, v57
	v_xor_b32_e32 v57, s25, v5
	v_xor_b32_e32 v5, s24, v5
	v_and_b32_e32 v7, v7, v5
	v_lshlrev_b32_e32 v5, 26, v6
	v_cmp_gt_i64_e64 s[24:25], 0, v[4:5]
	v_not_b32_e32 v5, v5
	v_ashrrev_i32_e32 v5, 31, v5
	v_and_b32_e32 v56, v56, v57
	v_xor_b32_e32 v57, s25, v5
	v_xor_b32_e32 v5, s24, v5
	v_and_b32_e32 v7, v7, v5
	v_lshlrev_b32_e32 v5, 25, v6
	v_cmp_gt_i64_e64 s[24:25], 0, v[4:5]
	v_not_b32_e32 v5, v5
	v_ashrrev_i32_e32 v5, 31, v5
	v_and_b32_e32 v56, v56, v57
	v_xor_b32_e32 v57, s25, v5
	v_xor_b32_e32 v5, s24, v5
	v_and_b32_e32 v56, v56, v57
	v_and_b32_e32 v57, v7, v5
	v_lshlrev_b32_e32 v5, 24, v6
	v_cmp_gt_i64_e64 s[24:25], 0, v[4:5]
	v_not_b32_e32 v5, v5
	v_ashrrev_i32_e32 v5, 31, v5
	v_xor_b32_e32 v6, s25, v5
	v_xor_b32_e32 v5, s24, v5
	; wave barrier
	ds_read_b32 v55, v44 offset:16
	v_and_b32_e32 v7, v56, v6
	v_and_b32_e32 v6, v57, v5
	v_mbcnt_lo_u32_b32 v5, v6, 0
	v_mbcnt_hi_u32_b32 v56, v7, v5
	v_cmp_eq_u32_e64 s[24:25], 0, v56
	v_cmp_ne_u64_e64 s[26:27], 0, v[6:7]
	s_and_b64 s[26:27], s[26:27], s[24:25]
	; wave barrier
	s_and_saveexec_b64 s[24:25], s[26:27]
	s_cbranch_execz .LBB19_47
; %bb.46:
	v_bcnt_u32_b32 v5, v6, 0
	v_bcnt_u32_b32 v5, v7, v5
	s_waitcnt lgkmcnt(0)
	v_add_u32_e32 v5, v55, v5
	ds_write_b32 v44, v5 offset:16
.LBB19_47:
	s_or_b64 exec, exec, s[24:25]
	v_cmp_lt_i16_e64 s[24:25], -1, v16
	v_cndmask_b32_e64 v5, -1, v45, s[24:25]
	v_xor_b32_e32 v16, v5, v16
	v_cmp_ne_u16_e64 s[24:25], s28, v16
	v_cndmask_b32_e64 v5, v45, v16, s[24:25]
	v_lshrrev_b32_sdwa v5, s68, v5 dst_sel:DWORD dst_unused:UNUSED_PAD src0_sel:DWORD src1_sel:WORD_0
	v_and_b32_e32 v6, s74, v5
	v_mul_u32_u24_e32 v5, 5, v6
	v_add_lshl_u32 v45, v5, v23, 2
	v_and_b32_e32 v5, 1, v6
	v_add_co_u32_e64 v7, s[24:25], -1, v5
	v_addc_co_u32_e64 v58, s[24:25], 0, -1, s[24:25]
	v_cmp_ne_u32_e64 s[24:25], 0, v5
	v_xor_b32_e32 v5, s25, v58
	v_and_b32_e32 v58, exec_hi, v5
	v_lshlrev_b32_e32 v5, 30, v6
	v_xor_b32_e32 v7, s24, v7
	v_cmp_gt_i64_e64 s[24:25], 0, v[4:5]
	v_not_b32_e32 v5, v5
	v_ashrrev_i32_e32 v5, 31, v5
	v_and_b32_e32 v7, exec_lo, v7
	v_xor_b32_e32 v59, s25, v5
	v_xor_b32_e32 v5, s24, v5
	v_and_b32_e32 v7, v7, v5
	v_lshlrev_b32_e32 v5, 29, v6
	v_cmp_gt_i64_e64 s[24:25], 0, v[4:5]
	v_not_b32_e32 v5, v5
	v_ashrrev_i32_e32 v5, 31, v5
	v_and_b32_e32 v58, v58, v59
	v_xor_b32_e32 v59, s25, v5
	v_xor_b32_e32 v5, s24, v5
	v_and_b32_e32 v7, v7, v5
	v_lshlrev_b32_e32 v5, 28, v6
	v_cmp_gt_i64_e64 s[24:25], 0, v[4:5]
	v_not_b32_e32 v5, v5
	v_ashrrev_i32_e32 v5, 31, v5
	v_and_b32_e32 v58, v58, v59
	;; [unrolled: 8-line block ×5, first 2 shown]
	v_xor_b32_e32 v59, s25, v5
	v_xor_b32_e32 v5, s24, v5
	v_and_b32_e32 v7, v7, v5
	v_lshlrev_b32_e32 v5, 24, v6
	v_cmp_gt_i64_e64 s[24:25], 0, v[4:5]
	v_not_b32_e32 v4, v5
	v_ashrrev_i32_e32 v4, 31, v4
	v_xor_b32_e32 v5, s25, v4
	v_xor_b32_e32 v4, s24, v4
	; wave barrier
	ds_read_b32 v23, v45 offset:16
	v_and_b32_e32 v58, v58, v59
	v_and_b32_e32 v4, v7, v4
	;; [unrolled: 1-line block ×3, first 2 shown]
	v_mbcnt_lo_u32_b32 v6, v4, 0
	v_mbcnt_hi_u32_b32 v58, v5, v6
	v_cmp_eq_u32_e64 s[24:25], 0, v58
	v_cmp_ne_u64_e64 s[26:27], 0, v[4:5]
	v_add_u32_e32 v57, 16, v9
	s_and_b64 s[26:27], s[26:27], s[24:25]
	; wave barrier
	s_and_saveexec_b64 s[24:25], s[26:27]
	s_cbranch_execz .LBB19_49
; %bb.48:
	v_bcnt_u32_b32 v4, v4, 0
	v_bcnt_u32_b32 v4, v5, v4
	s_waitcnt lgkmcnt(0)
	v_add_u32_e32 v4, v23, v4
	ds_write_b32 v45, v4 offset:16
.LBB19_49:
	s_or_b64 exec, exec, s[24:25]
	; wave barrier
	s_waitcnt lgkmcnt(0)
	s_barrier
	ds_read2_b32 v[6:7], v9 offset0:4 offset1:5
	ds_read2_b32 v[4:5], v57 offset0:2 offset1:3
	ds_read_b32 v59, v57 offset:16
	v_min_u32_e32 v3, 0xc0, v3
	v_or_b32_e32 v3, 63, v3
	s_waitcnt lgkmcnt(1)
	v_add3_u32 v60, v7, v6, v4
	s_waitcnt lgkmcnt(0)
	v_add3_u32 v59, v60, v5, v59
	v_and_b32_e32 v60, 15, v13
	v_cmp_ne_u32_e64 s[24:25], 0, v60
	v_mov_b32_dpp v61, v59 row_shr:1 row_mask:0xf bank_mask:0xf
	v_cndmask_b32_e64 v61, 0, v61, s[24:25]
	v_add_u32_e32 v59, v61, v59
	v_cmp_lt_u32_e64 s[24:25], 1, v60
	s_nop 0
	v_mov_b32_dpp v61, v59 row_shr:2 row_mask:0xf bank_mask:0xf
	v_cndmask_b32_e64 v61, 0, v61, s[24:25]
	v_add_u32_e32 v59, v59, v61
	v_cmp_lt_u32_e64 s[24:25], 3, v60
	s_nop 0
	;; [unrolled: 5-line block ×3, first 2 shown]
	v_mov_b32_dpp v61, v59 row_shr:8 row_mask:0xf bank_mask:0xf
	v_cndmask_b32_e64 v60, 0, v61, s[24:25]
	v_add_u32_e32 v59, v59, v60
	v_bfe_i32 v61, v13, 4, 1
	v_cmp_lt_u32_e64 s[24:25], 31, v13
	v_mov_b32_dpp v60, v59 row_bcast:15 row_mask:0xf bank_mask:0xf
	v_and_b32_e32 v60, v61, v60
	v_add_u32_e32 v59, v59, v60
	s_nop 1
	v_mov_b32_dpp v60, v59 row_bcast:31 row_mask:0xf bank_mask:0xf
	v_cndmask_b32_e64 v60, 0, v60, s[24:25]
	v_add_u32_e32 v59, v59, v60
	v_lshrrev_b32_e32 v60, 6, v2
	v_cmp_eq_u32_e64 s[24:25], v3, v2
	s_and_saveexec_b64 s[26:27], s[24:25]
	s_cbranch_execz .LBB19_51
; %bb.50:
	v_lshlrev_b32_e32 v3, 2, v60
	ds_write_b32 v3, v59
.LBB19_51:
	s_or_b64 exec, exec, s[26:27]
	v_cmp_gt_u32_e64 s[24:25], 4, v2
	s_waitcnt lgkmcnt(0)
	s_barrier
	s_and_saveexec_b64 s[26:27], s[24:25]
	s_cbranch_execz .LBB19_53
; %bb.52:
	v_lshlrev_b32_e32 v3, 2, v2
	ds_read_b32 v61, v3
	v_and_b32_e32 v62, 3, v13
	v_cmp_ne_u32_e64 s[24:25], 0, v62
	s_waitcnt lgkmcnt(0)
	v_mov_b32_dpp v63, v61 row_shr:1 row_mask:0xf bank_mask:0xf
	v_cndmask_b32_e64 v63, 0, v63, s[24:25]
	v_add_u32_e32 v61, v63, v61
	v_cmp_lt_u32_e64 s[24:25], 1, v62
	s_nop 0
	v_mov_b32_dpp v63, v61 row_shr:2 row_mask:0xf bank_mask:0xf
	v_cndmask_b32_e64 v62, 0, v63, s[24:25]
	v_add_u32_e32 v61, v61, v62
	ds_write_b32 v3, v61
.LBB19_53:
	s_or_b64 exec, exec, s[26:27]
	v_cmp_lt_u32_e64 s[24:25], 63, v2
	v_mov_b32_e32 v3, 0
	s_waitcnt lgkmcnt(0)
	s_barrier
	s_and_saveexec_b64 s[26:27], s[24:25]
	s_cbranch_execz .LBB19_55
; %bb.54:
	v_lshl_add_u32 v3, v60, 2, -4
	ds_read_b32 v3, v3
.LBB19_55:
	s_or_b64 exec, exec, s[26:27]
	v_add_u32_e32 v60, -1, v13
	v_and_b32_e32 v61, 64, v13
	v_cmp_lt_i32_e64 s[24:25], v60, v61
	v_cndmask_b32_e64 v60, v60, v13, s[24:25]
	s_waitcnt lgkmcnt(0)
	v_add_u32_e32 v59, v3, v59
	v_lshlrev_b32_e32 v60, 2, v60
	ds_bpermute_b32 v59, v60, v59
	v_cmp_eq_u32_e64 s[24:25], 0, v13
	s_waitcnt lgkmcnt(0)
	v_cndmask_b32_e64 v3, v59, v3, s[24:25]
	v_cmp_ne_u32_e64 s[24:25], 0, v2
	v_cndmask_b32_e64 v3, 0, v3, s[24:25]
	v_add_u32_e32 v6, v3, v6
	v_add_u32_e32 v7, v6, v7
	;; [unrolled: 1-line block ×4, first 2 shown]
	ds_write2_b32 v9, v3, v6 offset0:4 offset1:5
	ds_write2_b32 v57, v7, v4 offset0:2 offset1:3
	ds_write_b32 v57, v5 offset:16
	s_waitcnt lgkmcnt(0)
	s_barrier
	ds_read_b32 v5, v17 offset:16
	ds_read_b32 v6, v22 offset:16
	ds_read_b32 v7, v28 offset:16
	ds_read_b32 v17, v33 offset:16
	ds_read_b32 v22, v37 offset:16
	ds_read_b32 v28, v40 offset:16
	ds_read_b32 v33, v41 offset:16
	ds_read_b32 v37, v42 offset:16
	ds_read_b32 v57, v43 offset:16
	ds_read_b32 v59, v44 offset:16
	ds_read_b32 v60, v45 offset:16
	ds_read_b32 v11, v11 offset:16
	ds_read_b32 v4, v9 offset:16
	v_add_u32_e32 v9, 1, v2
	s_movk_i32 s24, 0x100
	v_cmp_ne_u32_e64 s[24:25], s24, v9
	v_mov_b32_e32 v3, 0xc00
	s_and_saveexec_b64 s[26:27], s[24:25]
	s_cbranch_execz .LBB19_57
; %bb.56:
	v_mul_u32_u24_e32 v3, 5, v9
	v_lshlrev_b32_e32 v3, 2, v3
	ds_read_b32 v3, v3 offset:16
.LBB19_57:
	s_or_b64 exec, exec, s[26:27]
	s_waitcnt lgkmcnt(1)
	v_add_u32_e32 v45, v11, v14
	v_add3_u32 v44, v18, v15, v5
	v_lshlrev_b32_e32 v5, 1, v45
	v_add3_u32 v43, v25, v20, v6
	s_waitcnt lgkmcnt(0)
	s_barrier
	ds_write_b16 v5, v8 offset:2048
	v_lshlrev_b32_e32 v5, 1, v44
	v_add3_u32 v42, v30, v27, v7
	ds_write_b16 v5, v10 offset:2048
	v_lshlrev_b32_e32 v5, 1, v43
	v_add3_u32 v41, v35, v32, v17
	;; [unrolled: 3-line block ×8, first 2 shown]
	ds_write_b16 v5, v31 offset:2048
	v_lshlrev_b32_e32 v5, 1, v36
	v_lshl_add_u32 v6, s6, 8, v2
	v_mov_b32_e32 v7, 0
	v_add3_u32 v34, v58, v23, v60
	ds_write_b16 v5, v26 offset:2048
	v_lshlrev_b32_e32 v5, 1, v35
	v_lshlrev_b64 v[8:9], 2, v[6:7]
	ds_write_b16 v5, v21 offset:2048
	v_lshlrev_b32_e32 v5, 1, v34
	v_sub_u32_e32 v32, v3, v4
	v_mov_b32_e32 v3, s73
	v_add_co_u32_e64 v8, s[24:25], s72, v8
	ds_write_b16 v5, v16 offset:2048
	v_addc_co_u32_e64 v9, s[24:25], v3, v9, s[24:25]
	v_or_b32_e32 v5, 2.0, v32
	s_waitcnt lgkmcnt(0)
	s_barrier
	global_store_dword v[8:9], v5, off
	s_mov_b64 s[26:27], 0
	s_brev_b32 s34, 1
	s_mov_b32 s35, s7
	v_mov_b32_e32 v5, 0
                                        ; implicit-def: $sgpr24_sgpr25
	s_branch .LBB19_59
.LBB19_58:                              ;   in Loop: Header=BB19_59 Depth=1
	s_or_b64 exec, exec, s[28:29]
	v_and_b32_e32 v10, 0x3fffffff, v14
	v_add_u32_e32 v5, v10, v5
	v_cmp_eq_u32_e64 s[24:25], s34, v6
	s_and_b64 s[28:29], exec, s[24:25]
	s_or_b64 s[26:27], s[28:29], s[26:27]
	s_andn2_b64 exec, exec, s[26:27]
	s_cbranch_execz .LBB19_65
.LBB19_59:                              ; =>This Loop Header: Depth=1
                                        ;     Child Loop BB19_62 Depth 2
	s_or_b64 s[24:25], s[24:25], exec
	s_cmp_eq_u32 s35, 0
	s_cbranch_scc1 .LBB19_64
; %bb.60:                               ;   in Loop: Header=BB19_59 Depth=1
	s_add_i32 s35, s35, -1
	v_lshl_add_u32 v6, s35, 8, v2
	v_lshlrev_b64 v[10:11], 2, v[6:7]
	v_add_co_u32_e64 v10, s[24:25], s72, v10
	v_addc_co_u32_e64 v11, s[24:25], v3, v11, s[24:25]
	global_load_dword v14, v[10:11], off glc
	s_waitcnt vmcnt(0)
	v_and_b32_e32 v6, -2.0, v14
	v_cmp_eq_u32_e64 s[24:25], 0, v6
	s_and_saveexec_b64 s[28:29], s[24:25]
	s_cbranch_execz .LBB19_58
; %bb.61:                               ;   in Loop: Header=BB19_59 Depth=1
	s_mov_b64 s[30:31], 0
.LBB19_62:                              ;   Parent Loop BB19_59 Depth=1
                                        ; =>  This Inner Loop Header: Depth=2
	global_load_dword v14, v[10:11], off glc
	s_waitcnt vmcnt(0)
	v_and_b32_e32 v6, -2.0, v14
	v_cmp_ne_u32_e64 s[24:25], 0, v6
	s_or_b64 s[30:31], s[24:25], s[30:31]
	s_andn2_b64 exec, exec, s[30:31]
	s_cbranch_execnz .LBB19_62
; %bb.63:                               ;   in Loop: Header=BB19_59 Depth=1
	s_or_b64 exec, exec, s[30:31]
	s_branch .LBB19_58
.LBB19_64:                              ;   in Loop: Header=BB19_59 Depth=1
                                        ; implicit-def: $sgpr35
	s_and_b64 s[28:29], exec, s[24:25]
	s_or_b64 s[26:27], s[28:29], s[26:27]
	s_andn2_b64 exec, exec, s[26:27]
	s_cbranch_execnz .LBB19_59
.LBB19_65:
	s_or_b64 exec, exec, s[26:27]
	v_add_u32_e32 v3, v5, v32
	v_or_b32_e32 v3, 0x80000000, v3
	global_store_dword v[8:9], v3, off
	v_lshlrev_b32_e32 v33, 3, v2
	global_load_dwordx2 v[6:7], v33, s[64:65]
	v_sub_co_u32_e64 v8, s[24:25], v5, v4
	v_subb_co_u32_e64 v9, s[24:25], 0, 0, s[24:25]
	v_mov_b32_e32 v3, 0
	v_mov_b32_e32 v5, v3
	s_waitcnt vmcnt(0)
	v_add_co_u32_e64 v6, s[24:25], v8, v6
	v_addc_co_u32_e64 v7, s[24:25], v9, v7, s[24:25]
	v_cmp_gt_u32_e64 s[24:25], s70, v2
	ds_write_b64 v33, v[6:7]
	s_waitcnt lgkmcnt(0)
	s_barrier
	s_and_saveexec_b64 s[28:29], s[24:25]
	s_cbranch_execz .LBB19_67
; %bb.66:
	v_mad_i32_i24 v6, v2, -6, v33
	ds_read_u16 v8, v6 offset:2048
	s_movk_i32 s26, 0x7fff
	v_mov_b32_e32 v9, 0xffff8000
	v_mov_b32_e32 v10, s59
	s_waitcnt lgkmcnt(0)
	v_cmp_ne_u16_e64 s[26:27], s26, v8
	v_cndmask_b32_e64 v6, v9, v8, s[26:27]
	v_lshrrev_b32_sdwa v6, s68, v6 dst_sel:DWORD dst_unused:UNUSED_PAD src0_sel:DWORD src1_sel:WORD_0
	v_and_b32_e32 v6, s74, v6
	v_lshlrev_b32_e32 v6, 3, v6
	ds_read_b64 v[6:7], v6
	v_cmp_lt_i16_e64 s[26:27], -1, v8
	v_cndmask_b32_e64 v9, v9, -1, s[26:27]
	v_xor_b32_e32 v8, v9, v8
	v_lshlrev_b32_e32 v9, 1, v2
	s_waitcnt lgkmcnt(0)
	v_lshlrev_b64 v[6:7], 1, v[6:7]
	v_add_co_u32_e64 v6, s[26:27], s58, v6
	v_addc_co_u32_e64 v7, s[26:27], v10, v7, s[26:27]
	v_add_co_u32_e64 v6, s[26:27], v6, v9
	v_addc_co_u32_e64 v7, s[26:27], 0, v7, s[26:27]
	global_store_short v[6:7], v8, off
.LBB19_67:
	s_or_b64 exec, exec, s[28:29]
	v_add_u32_e32 v6, 0x100, v2
	v_cmp_gt_u32_e64 s[26:27], s70, v6
	s_and_saveexec_b64 s[30:31], s[26:27]
	s_cbranch_execz .LBB19_69
; %bb.68:
	v_lshlrev_b32_e32 v8, 1, v2
	ds_read_u16 v9, v8 offset:2560
	s_movk_i32 s28, 0x7fff
	v_mov_b32_e32 v10, 0xffff8000
	v_mov_b32_e32 v11, s59
	s_waitcnt lgkmcnt(0)
	v_cmp_ne_u16_e64 s[28:29], s28, v9
	v_cndmask_b32_e64 v6, v10, v9, s[28:29]
	v_lshrrev_b32_sdwa v6, s68, v6 dst_sel:DWORD dst_unused:UNUSED_PAD src0_sel:DWORD src1_sel:WORD_0
	v_and_b32_e32 v6, s74, v6
	v_lshlrev_b32_e32 v6, 3, v6
	ds_read_b64 v[6:7], v6
	v_cmp_lt_i16_e64 s[28:29], -1, v9
	v_cndmask_b32_e64 v10, v10, -1, s[28:29]
	v_xor_b32_e32 v9, v10, v9
	s_waitcnt lgkmcnt(0)
	v_lshlrev_b64 v[6:7], 1, v[6:7]
	v_add_co_u32_e64 v6, s[28:29], s58, v6
	v_addc_co_u32_e64 v7, s[28:29], v11, v7, s[28:29]
	v_add_co_u32_e64 v6, s[28:29], v6, v8
	v_addc_co_u32_e64 v7, s[28:29], 0, v7, s[28:29]
	global_store_short v[6:7], v9, off offset:512
.LBB19_69:
	s_or_b64 exec, exec, s[30:31]
	v_add_u32_e32 v46, 0x200, v2
	v_cmp_gt_u32_e64 s[28:29], s70, v46
	s_and_saveexec_b64 s[34:35], s[28:29]
	s_cbranch_execz .LBB19_71
; %bb.70:
	v_lshlrev_b32_e32 v8, 1, v2
	ds_read_u16 v9, v8 offset:3072
	s_movk_i32 s30, 0x7fff
	v_mov_b32_e32 v10, 0xffff8000
	v_mov_b32_e32 v11, s59
	s_waitcnt lgkmcnt(0)
	v_cmp_ne_u16_e64 s[30:31], s30, v9
	v_cndmask_b32_e64 v6, v10, v9, s[30:31]
	v_lshrrev_b32_sdwa v6, s68, v6 dst_sel:DWORD dst_unused:UNUSED_PAD src0_sel:DWORD src1_sel:WORD_0
	v_and_b32_e32 v6, s74, v6
	v_lshlrev_b32_e32 v6, 3, v6
	ds_read_b64 v[6:7], v6
	v_cmp_lt_i16_e64 s[30:31], -1, v9
	v_cndmask_b32_e64 v10, v10, -1, s[30:31]
	v_xor_b32_e32 v9, v10, v9
	s_waitcnt lgkmcnt(0)
	v_lshlrev_b64 v[6:7], 1, v[6:7]
	v_add_co_u32_e64 v6, s[30:31], s58, v6
	v_addc_co_u32_e64 v7, s[30:31], v11, v7, s[30:31]
	v_add_co_u32_e64 v6, s[30:31], v6, v8
	v_addc_co_u32_e64 v7, s[30:31], 0, v7, s[30:31]
	global_store_short v[6:7], v9, off offset:1024
.LBB19_71:
	s_or_b64 exec, exec, s[34:35]
	v_add_u32_e32 v47, 0x300, v2
	v_cmp_gt_u32_e64 s[30:31], s70, v47
	s_and_saveexec_b64 s[36:37], s[30:31]
	s_cbranch_execz .LBB19_73
; %bb.72:
	v_lshlrev_b32_e32 v8, 1, v2
	ds_read_u16 v9, v8 offset:3584
	s_movk_i32 s34, 0x7fff
	v_mov_b32_e32 v10, 0xffff8000
	v_mov_b32_e32 v11, s59
	s_waitcnt lgkmcnt(0)
	v_cmp_ne_u16_e64 s[34:35], s34, v9
	v_cndmask_b32_e64 v6, v10, v9, s[34:35]
	v_lshrrev_b32_sdwa v6, s68, v6 dst_sel:DWORD dst_unused:UNUSED_PAD src0_sel:DWORD src1_sel:WORD_0
	v_and_b32_e32 v6, s74, v6
	v_lshlrev_b32_e32 v6, 3, v6
	ds_read_b64 v[6:7], v6
	v_cmp_lt_i16_e64 s[34:35], -1, v9
	v_cndmask_b32_e64 v10, v10, -1, s[34:35]
	v_xor_b32_e32 v9, v10, v9
	s_waitcnt lgkmcnt(0)
	v_lshlrev_b64 v[6:7], 1, v[6:7]
	v_add_co_u32_e64 v6, s[34:35], s58, v6
	v_addc_co_u32_e64 v7, s[34:35], v11, v7, s[34:35]
	v_add_co_u32_e64 v6, s[34:35], v6, v8
	v_addc_co_u32_e64 v7, s[34:35], 0, v7, s[34:35]
	global_store_short v[6:7], v9, off offset:1536
.LBB19_73:
	s_or_b64 exec, exec, s[36:37]
	v_or_b32_e32 v48, 0x400, v2
	v_cmp_gt_u32_e64 s[34:35], s70, v48
	s_and_saveexec_b64 s[38:39], s[34:35]
	s_cbranch_execz .LBB19_75
; %bb.74:
	v_lshlrev_b32_e32 v8, 1, v2
	ds_read_u16 v9, v8 offset:4096
	s_movk_i32 s36, 0x7fff
	v_mov_b32_e32 v10, 0xffff8000
	v_mov_b32_e32 v11, s59
	s_waitcnt lgkmcnt(0)
	v_cmp_ne_u16_e64 s[36:37], s36, v9
	v_cndmask_b32_e64 v6, v10, v9, s[36:37]
	v_lshrrev_b32_sdwa v6, s68, v6 dst_sel:DWORD dst_unused:UNUSED_PAD src0_sel:DWORD src1_sel:WORD_0
	v_and_b32_e32 v6, s74, v6
	v_lshlrev_b32_e32 v6, 3, v6
	ds_read_b64 v[6:7], v6
	v_cmp_lt_i16_e64 s[36:37], -1, v9
	v_cndmask_b32_e64 v10, v10, -1, s[36:37]
	v_xor_b32_e32 v9, v10, v9
	s_waitcnt lgkmcnt(0)
	v_lshlrev_b64 v[6:7], 1, v[6:7]
	v_add_co_u32_e64 v6, s[36:37], s58, v6
	v_addc_co_u32_e64 v7, s[36:37], v11, v7, s[36:37]
	v_add_co_u32_e64 v6, s[36:37], v6, v8
	v_addc_co_u32_e64 v7, s[36:37], 0, v7, s[36:37]
	global_store_short v[6:7], v9, off offset:2048
.LBB19_75:
	s_or_b64 exec, exec, s[38:39]
	v_add_u32_e32 v49, 0x500, v2
	v_cmp_gt_u32_e64 s[36:37], s70, v49
	s_and_saveexec_b64 s[40:41], s[36:37]
	s_cbranch_execz .LBB19_77
; %bb.76:
	v_lshlrev_b32_e32 v8, 1, v2
	ds_read_u16 v9, v8 offset:4608
	s_movk_i32 s38, 0x7fff
	v_mov_b32_e32 v10, 0xffff8000
	v_mov_b32_e32 v11, s59
	s_waitcnt lgkmcnt(0)
	v_cmp_ne_u16_e64 s[38:39], s38, v9
	v_cndmask_b32_e64 v6, v10, v9, s[38:39]
	v_lshrrev_b32_sdwa v6, s68, v6 dst_sel:DWORD dst_unused:UNUSED_PAD src0_sel:DWORD src1_sel:WORD_0
	v_and_b32_e32 v6, s74, v6
	v_lshlrev_b32_e32 v6, 3, v6
	ds_read_b64 v[6:7], v6
	v_cmp_lt_i16_e64 s[38:39], -1, v9
	v_cndmask_b32_e64 v10, v10, -1, s[38:39]
	v_xor_b32_e32 v9, v10, v9
	s_waitcnt lgkmcnt(0)
	v_lshlrev_b64 v[6:7], 1, v[6:7]
	v_add_co_u32_e64 v6, s[38:39], s58, v6
	v_addc_co_u32_e64 v7, s[38:39], v11, v7, s[38:39]
	v_add_co_u32_e64 v6, s[38:39], v6, v8
	v_addc_co_u32_e64 v7, s[38:39], 0, v7, s[38:39]
	global_store_short v[6:7], v9, off offset:2560
.LBB19_77:
	s_or_b64 exec, exec, s[40:41]
	v_add_u32_e32 v50, 0x600, v2
	;; [unrolled: 29-line block ×3, first 2 shown]
	v_cmp_gt_u32_e64 s[40:41], s70, v51
	s_and_saveexec_b64 s[44:45], s[40:41]
	s_cbranch_execz .LBB19_81
; %bb.80:
	v_lshlrev_b32_e32 v8, 1, v2
	ds_read_u16 v9, v8 offset:5632
	s_movk_i32 s42, 0x7fff
	v_mov_b32_e32 v10, 0xffff8000
	v_mov_b32_e32 v11, s59
	s_waitcnt lgkmcnt(0)
	v_cmp_ne_u16_e64 s[42:43], s42, v9
	v_cndmask_b32_e64 v6, v10, v9, s[42:43]
	v_lshrrev_b32_sdwa v6, s68, v6 dst_sel:DWORD dst_unused:UNUSED_PAD src0_sel:DWORD src1_sel:WORD_0
	v_and_b32_e32 v6, s74, v6
	v_lshlrev_b32_e32 v6, 3, v6
	ds_read_b64 v[6:7], v6
	v_cmp_lt_i16_e64 s[42:43], -1, v9
	v_cndmask_b32_e64 v10, v10, -1, s[42:43]
	v_xor_b32_e32 v9, v10, v9
	s_waitcnt lgkmcnt(0)
	v_lshlrev_b64 v[6:7], 1, v[6:7]
	v_add_co_u32_e64 v6, s[42:43], s58, v6
	v_addc_co_u32_e64 v7, s[42:43], v11, v7, s[42:43]
	v_add_co_u32_e64 v6, s[42:43], v6, v8
	v_addc_co_u32_e64 v7, s[42:43], 0, v7, s[42:43]
	global_store_short v[6:7], v9, off offset:3584
.LBB19_81:
	s_or_b64 exec, exec, s[44:45]
	v_or_b32_e32 v52, 0x800, v2
	v_cmp_gt_u32_e64 s[42:43], s70, v52
	s_and_saveexec_b64 s[46:47], s[42:43]
	s_cbranch_execz .LBB19_83
; %bb.82:
	v_lshlrev_b32_e32 v6, 1, v2
	ds_read_u16 v8, v6 offset:6144
	s_movk_i32 s44, 0x7fff
	v_mov_b32_e32 v9, 0xffff8000
	v_mov_b32_e32 v10, s59
	s_waitcnt lgkmcnt(0)
	v_cmp_ne_u16_e64 s[44:45], s44, v8
	v_cndmask_b32_e64 v6, v9, v8, s[44:45]
	v_lshrrev_b32_sdwa v6, s68, v6 dst_sel:DWORD dst_unused:UNUSED_PAD src0_sel:DWORD src1_sel:WORD_0
	v_and_b32_e32 v6, s74, v6
	v_lshlrev_b32_e32 v6, 3, v6
	ds_read_b64 v[6:7], v6
	v_cmp_lt_i16_e64 s[44:45], -1, v8
	v_cndmask_b32_e64 v9, v9, -1, s[44:45]
	v_xor_b32_e32 v8, v9, v8
	v_lshlrev_b32_e32 v9, 1, v52
	s_waitcnt lgkmcnt(0)
	v_lshlrev_b64 v[6:7], 1, v[6:7]
	v_add_co_u32_e64 v6, s[44:45], s58, v6
	v_addc_co_u32_e64 v7, s[44:45], v10, v7, s[44:45]
	v_add_co_u32_e64 v6, s[44:45], v6, v9
	v_addc_co_u32_e64 v7, s[44:45], 0, v7, s[44:45]
	global_store_short v[6:7], v8, off
.LBB19_83:
	s_or_b64 exec, exec, s[46:47]
	v_add_u32_e32 v53, 0x900, v2
	v_cmp_gt_u32_e64 s[44:45], s70, v53
	s_and_saveexec_b64 s[48:49], s[44:45]
	s_cbranch_execz .LBB19_85
; %bb.84:
	v_lshlrev_b32_e32 v6, 1, v2
	ds_read_u16 v8, v6 offset:6656
	s_movk_i32 s46, 0x7fff
	v_mov_b32_e32 v9, 0xffff8000
	v_mov_b32_e32 v10, s59
	s_waitcnt lgkmcnt(0)
	v_cmp_ne_u16_e64 s[46:47], s46, v8
	v_cndmask_b32_e64 v6, v9, v8, s[46:47]
	v_lshrrev_b32_sdwa v6, s68, v6 dst_sel:DWORD dst_unused:UNUSED_PAD src0_sel:DWORD src1_sel:WORD_0
	v_and_b32_e32 v6, s74, v6
	v_lshlrev_b32_e32 v6, 3, v6
	ds_read_b64 v[6:7], v6
	v_cmp_lt_i16_e64 s[46:47], -1, v8
	v_cndmask_b32_e64 v9, v9, -1, s[46:47]
	v_xor_b32_e32 v8, v9, v8
	v_lshlrev_b32_e32 v9, 1, v53
	s_waitcnt lgkmcnt(0)
	v_lshlrev_b64 v[6:7], 1, v[6:7]
	v_add_co_u32_e64 v6, s[46:47], s58, v6
	v_addc_co_u32_e64 v7, s[46:47], v10, v7, s[46:47]
	v_add_co_u32_e64 v6, s[46:47], v6, v9
	v_addc_co_u32_e64 v7, s[46:47], 0, v7, s[46:47]
	global_store_short v[6:7], v8, off
.LBB19_85:
	s_or_b64 exec, exec, s[48:49]
	v_add_u32_e32 v54, 0xa00, v2
	;; [unrolled: 30-line block ×3, first 2 shown]
	v_cmp_gt_u32_e64 s[48:49], s70, v55
	s_and_saveexec_b64 s[70:71], s[48:49]
	s_cbranch_execz .LBB19_89
; %bb.88:
	v_lshlrev_b32_e32 v6, 1, v2
	ds_read_u16 v8, v6 offset:7680
	s_movk_i32 s52, 0x7fff
	v_mov_b32_e32 v9, 0xffff8000
	v_mov_b32_e32 v10, s59
	s_waitcnt lgkmcnt(0)
	v_cmp_ne_u16_e64 s[52:53], s52, v8
	v_cndmask_b32_e64 v6, v9, v8, s[52:53]
	v_lshrrev_b32_sdwa v6, s68, v6 dst_sel:DWORD dst_unused:UNUSED_PAD src0_sel:DWORD src1_sel:WORD_0
	v_and_b32_e32 v6, s74, v6
	v_lshlrev_b32_e32 v6, 3, v6
	ds_read_b64 v[6:7], v6
	v_cmp_lt_i16_e64 s[52:53], -1, v8
	v_cndmask_b32_e64 v9, v9, -1, s[52:53]
	v_xor_b32_e32 v8, v9, v8
	v_lshlrev_b32_e32 v9, 1, v55
	s_waitcnt lgkmcnt(0)
	v_lshlrev_b64 v[6:7], 1, v[6:7]
	v_add_co_u32_e64 v6, s[52:53], s58, v6
	v_addc_co_u32_e64 v7, s[52:53], v10, v7, s[52:53]
	v_add_co_u32_e64 v6, s[52:53], v6, v9
	v_addc_co_u32_e64 v7, s[52:53], 0, v7, s[52:53]
	global_store_short v[6:7], v8, off
.LBB19_89:
	s_or_b64 exec, exec, s[70:71]
	s_lshl_b64 s[52:53], s[54:55], 3
	s_add_u32 s52, s60, s52
	s_addc_u32 s53, s61, s53
	v_lshlrev_b32_e32 v6, 3, v13
	v_mov_b32_e32 v7, s53
	v_add_co_u32_e64 v6, s[52:53], s52, v6
	v_addc_co_u32_e64 v7, s[52:53], 0, v7, s[52:53]
	v_lshlrev_b32_e32 v8, 3, v12
	v_add_co_u32_e64 v30, s[52:53], v6, v8
	v_addc_co_u32_e64 v31, s[52:53], 0, v7, s[52:53]
                                        ; implicit-def: $vgpr6_vgpr7
	s_and_saveexec_b64 s[52:53], vcc
	s_xor_b64 s[52:53], exec, s[52:53]
	s_cbranch_execnz .LBB19_174
; %bb.90:
	s_or_b64 exec, exec, s[52:53]
                                        ; implicit-def: $vgpr8_vgpr9
	s_and_saveexec_b64 s[52:53], s[0:1]
	s_cbranch_execnz .LBB19_175
.LBB19_91:
	s_or_b64 exec, exec, s[52:53]
                                        ; implicit-def: $vgpr10_vgpr11
	s_and_saveexec_b64 s[0:1], s[2:3]
	s_cbranch_execnz .LBB19_176
.LBB19_92:
	s_or_b64 exec, exec, s[0:1]
                                        ; implicit-def: $vgpr12_vgpr13
	s_and_saveexec_b64 s[0:1], s[50:51]
	s_cbranch_execnz .LBB19_177
.LBB19_93:
	s_or_b64 exec, exec, s[0:1]
                                        ; implicit-def: $vgpr14_vgpr15
	s_and_saveexec_b64 s[0:1], s[8:9]
	s_cbranch_execnz .LBB19_178
.LBB19_94:
	s_or_b64 exec, exec, s[0:1]
                                        ; implicit-def: $vgpr16_vgpr17
	s_and_saveexec_b64 s[0:1], s[12:13]
	s_cbranch_execnz .LBB19_179
.LBB19_95:
	s_or_b64 exec, exec, s[0:1]
                                        ; implicit-def: $vgpr18_vgpr19
	s_and_saveexec_b64 s[0:1], s[16:17]
	s_cbranch_execnz .LBB19_180
.LBB19_96:
	s_or_b64 exec, exec, s[0:1]
                                        ; implicit-def: $vgpr20_vgpr21
	s_and_saveexec_b64 s[0:1], s[20:21]
	s_cbranch_execnz .LBB19_181
.LBB19_97:
	s_or_b64 exec, exec, s[0:1]
                                        ; implicit-def: $vgpr22_vgpr23
	s_and_saveexec_b64 s[0:1], s[22:23]
	s_cbranch_execnz .LBB19_182
.LBB19_98:
	s_or_b64 exec, exec, s[0:1]
                                        ; implicit-def: $vgpr24_vgpr25
	s_and_saveexec_b64 s[0:1], s[18:19]
	s_cbranch_execnz .LBB19_183
.LBB19_99:
	s_or_b64 exec, exec, s[0:1]
                                        ; implicit-def: $vgpr26_vgpr27
	s_and_saveexec_b64 s[0:1], s[14:15]
	s_cbranch_execnz .LBB19_184
.LBB19_100:
	s_or_b64 exec, exec, s[0:1]
                                        ; implicit-def: $vgpr28_vgpr29
	s_and_saveexec_b64 s[0:1], s[10:11]
	s_cbranch_execnz .LBB19_185
.LBB19_101:
	s_or_b64 exec, exec, s[0:1]
                                        ; implicit-def: $vgpr65
	s_and_saveexec_b64 s[0:1], s[24:25]
	s_cbranch_execnz .LBB19_186
.LBB19_102:
	s_or_b64 exec, exec, s[0:1]
                                        ; implicit-def: $vgpr64
	s_and_saveexec_b64 s[0:1], s[26:27]
	s_cbranch_execnz .LBB19_187
.LBB19_103:
	s_or_b64 exec, exec, s[0:1]
                                        ; implicit-def: $vgpr63
	s_and_saveexec_b64 s[0:1], s[28:29]
	s_cbranch_execnz .LBB19_188
.LBB19_104:
	s_or_b64 exec, exec, s[0:1]
                                        ; implicit-def: $vgpr62
	s_and_saveexec_b64 s[0:1], s[30:31]
	s_cbranch_execnz .LBB19_189
.LBB19_105:
	s_or_b64 exec, exec, s[0:1]
                                        ; implicit-def: $vgpr61
	s_and_saveexec_b64 s[0:1], s[34:35]
	s_cbranch_execnz .LBB19_190
.LBB19_106:
	s_or_b64 exec, exec, s[0:1]
                                        ; implicit-def: $vgpr60
	s_and_saveexec_b64 s[0:1], s[36:37]
	s_cbranch_execnz .LBB19_191
.LBB19_107:
	s_or_b64 exec, exec, s[0:1]
                                        ; implicit-def: $vgpr59
	s_and_saveexec_b64 s[0:1], s[38:39]
	s_cbranch_execnz .LBB19_192
.LBB19_108:
	s_or_b64 exec, exec, s[0:1]
                                        ; implicit-def: $vgpr58
	s_and_saveexec_b64 s[0:1], s[40:41]
	s_cbranch_execnz .LBB19_193
.LBB19_109:
	s_or_b64 exec, exec, s[0:1]
                                        ; implicit-def: $vgpr57
	s_and_saveexec_b64 s[0:1], s[42:43]
	s_cbranch_execz .LBB19_111
.LBB19_110:
	v_lshlrev_b32_e32 v30, 1, v2
	ds_read_u16 v30, v30 offset:6144
	s_movk_i32 s2, 0x7fff
	v_mov_b32_e32 v31, 0xffff8000
	s_waitcnt lgkmcnt(0)
	v_cmp_ne_u16_e32 vcc, s2, v30
	v_cndmask_b32_e32 v30, v31, v30, vcc
	v_lshrrev_b32_sdwa v30, s68, v30 dst_sel:DWORD dst_unused:UNUSED_PAD src0_sel:DWORD src1_sel:WORD_0
	v_and_b32_e32 v57, s74, v30
.LBB19_111:
	s_or_b64 exec, exec, s[0:1]
	v_mov_b32_e32 v30, 0
	v_mov_b32_e32 v56, 0
	s_and_saveexec_b64 s[0:1], s[44:45]
	s_cbranch_execnz .LBB19_194
; %bb.112:
	s_or_b64 exec, exec, s[0:1]
	s_and_saveexec_b64 s[0:1], s[46:47]
	s_cbranch_execnz .LBB19_195
.LBB19_113:
	s_or_b64 exec, exec, s[0:1]
	v_mov_b32_e32 v31, 0
	s_and_saveexec_b64 s[0:1], s[48:49]
	s_cbranch_execz .LBB19_115
.LBB19_114:
	v_lshlrev_b32_e32 v31, 1, v2
	ds_read_u16 v31, v31 offset:7680
	s_movk_i32 s2, 0x7fff
	v_mov_b32_e32 v66, 0xffff8000
	s_waitcnt lgkmcnt(0)
	v_cmp_ne_u16_e32 vcc, s2, v31
	v_cndmask_b32_e32 v31, v66, v31, vcc
	v_lshrrev_b32_sdwa v31, s68, v31 dst_sel:DWORD dst_unused:UNUSED_PAD src0_sel:DWORD src1_sel:WORD_0
	v_and_b32_e32 v31, s74, v31
.LBB19_115:
	s_or_b64 exec, exec, s[0:1]
	v_lshlrev_b32_e32 v45, 3, v45
	s_barrier
	s_waitcnt vmcnt(0)
	ds_write_b64 v45, v[6:7] offset:2048
	v_lshlrev_b32_e32 v6, 3, v44
	ds_write_b64 v6, v[8:9] offset:2048
	v_lshlrev_b32_e32 v6, 3, v43
	ds_write_b64 v6, v[10:11] offset:2048
	v_lshlrev_b32_e32 v6, 3, v42
	ds_write_b64 v6, v[12:13] offset:2048
	v_lshlrev_b32_e32 v6, 3, v41
	ds_write_b64 v6, v[14:15] offset:2048
	v_lshlrev_b32_e32 v6, 3, v40
	ds_write_b64 v6, v[16:17] offset:2048
	v_lshlrev_b32_e32 v6, 3, v39
	ds_write_b64 v6, v[18:19] offset:2048
	v_lshlrev_b32_e32 v6, 3, v38
	ds_write_b64 v6, v[20:21] offset:2048
	v_lshlrev_b32_e32 v6, 3, v37
	ds_write_b64 v6, v[22:23] offset:2048
	v_lshlrev_b32_e32 v6, 3, v36
	ds_write_b64 v6, v[24:25] offset:2048
	v_lshlrev_b32_e32 v6, 3, v35
	ds_write_b64 v6, v[26:27] offset:2048
	v_lshlrev_b32_e32 v6, 3, v34
	ds_write_b64 v6, v[28:29] offset:2048
	s_waitcnt lgkmcnt(0)
	s_barrier
	s_and_saveexec_b64 s[0:1], s[24:25]
	s_cbranch_execnz .LBB19_196
; %bb.116:
	s_or_b64 exec, exec, s[0:1]
	s_and_saveexec_b64 s[0:1], s[26:27]
	s_cbranch_execnz .LBB19_197
.LBB19_117:
	s_or_b64 exec, exec, s[0:1]
	s_and_saveexec_b64 s[0:1], s[28:29]
	s_cbranch_execnz .LBB19_198
.LBB19_118:
	s_or_b64 exec, exec, s[0:1]
	s_and_saveexec_b64 s[0:1], s[30:31]
	s_cbranch_execnz .LBB19_199
.LBB19_119:
	s_or_b64 exec, exec, s[0:1]
	s_and_saveexec_b64 s[0:1], s[34:35]
	s_cbranch_execnz .LBB19_200
.LBB19_120:
	s_or_b64 exec, exec, s[0:1]
	s_and_saveexec_b64 s[0:1], s[36:37]
	s_cbranch_execnz .LBB19_201
.LBB19_121:
	s_or_b64 exec, exec, s[0:1]
	s_and_saveexec_b64 s[0:1], s[38:39]
	s_cbranch_execnz .LBB19_202
.LBB19_122:
	s_or_b64 exec, exec, s[0:1]
	s_and_saveexec_b64 s[0:1], s[40:41]
	s_cbranch_execnz .LBB19_203
.LBB19_123:
	s_or_b64 exec, exec, s[0:1]
	s_and_saveexec_b64 s[0:1], s[42:43]
	s_cbranch_execnz .LBB19_204
.LBB19_124:
	s_or_b64 exec, exec, s[0:1]
	s_and_saveexec_b64 s[0:1], s[44:45]
	s_cbranch_execnz .LBB19_205
.LBB19_125:
	s_or_b64 exec, exec, s[0:1]
	s_and_saveexec_b64 s[0:1], s[46:47]
	s_cbranch_execnz .LBB19_206
.LBB19_126:
	s_or_b64 exec, exec, s[0:1]
	s_and_saveexec_b64 s[0:1], s[48:49]
	s_cbranch_execz .LBB19_128
.LBB19_127:
	v_lshlrev_b32_e32 v6, 3, v31
	ds_read_b64 v[6:7], v6
	v_lshlrev_b32_e32 v8, 3, v2
	ds_read_b64 v[8:9], v8 offset:24576
	v_mov_b32_e32 v10, s63
	s_waitcnt lgkmcnt(1)
	v_lshlrev_b64 v[6:7], 3, v[6:7]
	v_add_co_u32_e32 v6, vcc, s62, v6
	v_addc_co_u32_e32 v7, vcc, v10, v7, vcc
	v_lshlrev_b32_e32 v10, 3, v55
	v_add_co_u32_e32 v6, vcc, v6, v10
	v_addc_co_u32_e32 v7, vcc, 0, v7, vcc
	s_waitcnt lgkmcnt(0)
	global_store_dwordx2 v[6:7], v[8:9], off
.LBB19_128:
	s_or_b64 exec, exec, s[0:1]
	s_add_i32 s33, s33, -1
	s_cmp_eq_u32 s6, s33
	s_cselect_b64 s[0:1], -1, 0
	s_branch .LBB19_171
.LBB19_129:
	s_mov_b64 s[0:1], 0
                                        ; implicit-def: $vgpr33
                                        ; implicit-def: $vgpr2_vgpr3
                                        ; implicit-def: $vgpr4_vgpr5
                                        ; implicit-def: $vgpr32
	s_cbranch_execz .LBB19_171
; %bb.130:
	s_mov_b32 s55, 0
	s_lshl_b64 s[0:1], s[54:55], 1
	v_mbcnt_hi_u32_b32 v11, -1, v1
	s_add_u32 s0, s56, s0
	v_lshlrev_b32_e32 v1, 1, v11
	v_and_b32_e32 v2, 0x3ff, v0
	v_add_co_u32_e32 v1, vcc, s0, v1
	s_load_dword s8, s[4:5], 0x50
	s_load_dword s0, s[4:5], 0x5c
	s_addc_u32 s1, s57, s1
	v_and_b32_e32 v7, 0xc0, v2
	v_mul_u32_u24_e32 v10, 12, v7
	v_mov_b32_e32 v3, s1
	v_addc_co_u32_e32 v3, vcc, 0, v3, vcc
	v_lshlrev_b32_e32 v5, 1, v10
	v_add_co_u32_e32 v8, vcc, v1, v5
	s_add_u32 s1, s4, 0x50
	v_addc_co_u32_e32 v9, vcc, 0, v3, vcc
	s_addc_u32 s2, s5, 0
	s_waitcnt lgkmcnt(0)
	s_lshr_b32 s3, s0, 16
	global_load_ushort v1, v[8:9], off
	s_cmp_lt_u32 s6, s8
	s_cselect_b32 s0, 12, 18
	s_add_u32 s0, s1, s0
	v_mov_b32_e32 v4, 0
	s_addc_u32 s1, s2, 0
	global_load_ushort v5, v4, s[0:1]
	v_mul_u32_u24_e32 v6, 5, v2
	v_lshlrev_b32_e32 v6, 2, v6
	ds_write2_b32 v6, v4, v4 offset0:4 offset1:5
	ds_write2_b32 v6, v4, v4 offset0:6 offset1:7
	ds_write_b32 v6, v4 offset:32
	global_load_ushort v12, v[8:9], off offset:128
	global_load_ushort v16, v[8:9], off offset:256
	;; [unrolled: 1-line block ×11, first 2 shown]
	v_mov_b32_e32 v13, 0xffff8000
	v_bfe_u32 v3, v0, 10, 10
	v_bfe_u32 v0, v0, 20, 10
	v_mad_u32_u24 v0, v0, s3, v3
	s_movk_i32 s2, 0x7fff
	s_lshl_b32 s0, -1, s69
	s_not_b32 s9, s0
	s_waitcnt lgkmcnt(0)
	s_barrier
	s_waitcnt lgkmcnt(0)
	; wave barrier
	s_waitcnt vmcnt(12)
	v_cmp_lt_i16_e32 vcc, -1, v1
	v_cndmask_b32_e32 v3, -1, v13, vcc
	v_xor_b32_e32 v3, v3, v1
	v_cmp_ne_u16_e32 vcc, s2, v3
	v_cndmask_b32_e32 v8, v13, v3, vcc
	s_waitcnt vmcnt(11)
	v_mad_u64_u32 v[0:1], s[0:1], v0, v5, v[2:3]
	v_lshrrev_b32_sdwa v1, s68, v8 dst_sel:DWORD dst_unused:UNUSED_PAD src0_sel:DWORD src1_sel:WORD_0
	v_lshrrev_b32_e32 v18, 6, v0
	v_and_b32_e32 v0, s9, v1
	v_mul_u32_u24_e32 v1, 5, v0
	v_and_b32_e32 v9, 1, v0
	v_add_lshl_u32 v8, v18, v1, 2
	v_add_co_u32_e32 v1, vcc, -1, v9
	v_lshlrev_b32_e32 v5, 30, v0
	v_addc_co_u32_e64 v14, s[0:1], 0, -1, vcc
	v_cmp_ne_u32_e32 vcc, 0, v9
	v_cmp_gt_i64_e64 s[0:1], 0, v[4:5]
	v_not_b32_e32 v9, v5
	v_lshlrev_b32_e32 v5, 29, v0
	v_xor_b32_e32 v14, vcc_hi, v14
	v_xor_b32_e32 v1, vcc_lo, v1
	v_ashrrev_i32_e32 v9, 31, v9
	v_cmp_gt_i64_e32 vcc, 0, v[4:5]
	v_not_b32_e32 v15, v5
	v_lshlrev_b32_e32 v5, 28, v0
	v_and_b32_e32 v14, exec_hi, v14
	v_and_b32_e32 v1, exec_lo, v1
	v_xor_b32_e32 v19, s1, v9
	v_xor_b32_e32 v9, s0, v9
	v_ashrrev_i32_e32 v15, 31, v15
	v_cmp_gt_i64_e64 s[0:1], 0, v[4:5]
	v_not_b32_e32 v5, v5
	v_and_b32_e32 v14, v14, v19
	v_and_b32_e32 v1, v1, v9
	v_xor_b32_e32 v9, vcc_hi, v15
	v_xor_b32_e32 v15, vcc_lo, v15
	v_ashrrev_i32_e32 v5, 31, v5
	v_and_b32_e32 v9, v14, v9
	v_and_b32_e32 v1, v1, v15
	v_xor_b32_e32 v14, s1, v5
	v_xor_b32_e32 v5, s0, v5
	v_and_b32_e32 v1, v1, v5
	v_lshlrev_b32_e32 v5, 27, v0
	v_cmp_gt_i64_e32 vcc, 0, v[4:5]
	v_not_b32_e32 v5, v5
	v_ashrrev_i32_e32 v5, 31, v5
	v_and_b32_e32 v9, v9, v14
	v_xor_b32_e32 v14, vcc_hi, v5
	v_xor_b32_e32 v5, vcc_lo, v5
	v_and_b32_e32 v1, v1, v5
	v_lshlrev_b32_e32 v5, 26, v0
	v_cmp_gt_i64_e32 vcc, 0, v[4:5]
	v_not_b32_e32 v5, v5
	v_ashrrev_i32_e32 v5, 31, v5
	v_and_b32_e32 v9, v9, v14
	v_xor_b32_e32 v14, vcc_hi, v5
	v_xor_b32_e32 v5, vcc_lo, v5
	;; [unrolled: 8-line block ×3, first 2 shown]
	v_and_b32_e32 v9, v9, v14
	v_and_b32_e32 v14, v1, v5
	v_lshlrev_b32_e32 v5, 24, v0
	v_not_b32_e32 v0, v5
	v_cmp_gt_i64_e32 vcc, 0, v[4:5]
	v_ashrrev_i32_e32 v0, 31, v0
	v_xor_b32_e32 v1, vcc_hi, v0
	v_xor_b32_e32 v0, vcc_lo, v0
	v_and_b32_e32 v0, v14, v0
	v_and_b32_e32 v1, v9, v1
	v_mbcnt_lo_u32_b32 v5, v0, 0
	v_mbcnt_hi_u32_b32 v9, v1, v5
	v_cmp_eq_u32_e32 vcc, 0, v9
	v_cmp_ne_u64_e64 s[0:1], 0, v[0:1]
	s_and_b64 s[4:5], s[0:1], vcc
	s_and_saveexec_b64 s[0:1], s[4:5]
	s_cbranch_execz .LBB19_132
; %bb.131:
	v_bcnt_u32_b32 v0, v0, 0
	v_bcnt_u32_b32 v0, v1, v0
	ds_write_b32 v8, v0 offset:16
.LBB19_132:
	s_or_b64 exec, exec, s[0:1]
	s_waitcnt vmcnt(10)
	v_cmp_lt_i16_e32 vcc, -1, v12
	v_cndmask_b32_e32 v0, -1, v13, vcc
	v_xor_b32_e32 v12, v0, v12
	v_cmp_ne_u16_e32 vcc, s2, v12
	v_cndmask_b32_e32 v0, v13, v12, vcc
	v_lshrrev_b32_sdwa v0, s68, v0 dst_sel:DWORD dst_unused:UNUSED_PAD src0_sel:DWORD src1_sel:WORD_0
	v_and_b32_e32 v0, s9, v0
	v_mul_u32_u24_e32 v1, 5, v0
	v_add_lshl_u32 v14, v18, v1, 2
	v_and_b32_e32 v1, 1, v0
	v_add_co_u32_e32 v5, vcc, -1, v1
	v_addc_co_u32_e64 v15, s[0:1], 0, -1, vcc
	v_cmp_ne_u32_e32 vcc, 0, v1
	v_xor_b32_e32 v5, vcc_lo, v5
	v_xor_b32_e32 v1, vcc_hi, v15
	v_and_b32_e32 v15, exec_lo, v5
	v_lshlrev_b32_e32 v5, 30, v0
	v_cmp_gt_i64_e32 vcc, 0, v[4:5]
	v_not_b32_e32 v5, v5
	v_ashrrev_i32_e32 v5, 31, v5
	v_xor_b32_e32 v19, vcc_hi, v5
	v_xor_b32_e32 v5, vcc_lo, v5
	v_and_b32_e32 v15, v15, v5
	v_lshlrev_b32_e32 v5, 29, v0
	v_cmp_gt_i64_e32 vcc, 0, v[4:5]
	v_not_b32_e32 v5, v5
	v_and_b32_e32 v1, exec_hi, v1
	v_ashrrev_i32_e32 v5, 31, v5
	v_and_b32_e32 v1, v1, v19
	v_xor_b32_e32 v19, vcc_hi, v5
	v_xor_b32_e32 v5, vcc_lo, v5
	v_and_b32_e32 v15, v15, v5
	v_lshlrev_b32_e32 v5, 28, v0
	v_cmp_gt_i64_e32 vcc, 0, v[4:5]
	v_not_b32_e32 v5, v5
	v_ashrrev_i32_e32 v5, 31, v5
	v_and_b32_e32 v1, v1, v19
	v_xor_b32_e32 v19, vcc_hi, v5
	v_xor_b32_e32 v5, vcc_lo, v5
	v_and_b32_e32 v15, v15, v5
	v_lshlrev_b32_e32 v5, 27, v0
	v_cmp_gt_i64_e32 vcc, 0, v[4:5]
	v_not_b32_e32 v5, v5
	;; [unrolled: 8-line block ×4, first 2 shown]
	v_ashrrev_i32_e32 v5, 31, v5
	v_and_b32_e32 v1, v1, v19
	v_xor_b32_e32 v19, vcc_hi, v5
	v_xor_b32_e32 v5, vcc_lo, v5
	v_and_b32_e32 v15, v15, v5
	v_lshlrev_b32_e32 v5, 24, v0
	v_not_b32_e32 v0, v5
	v_cmp_gt_i64_e32 vcc, 0, v[4:5]
	v_ashrrev_i32_e32 v0, 31, v0
	v_xor_b32_e32 v4, vcc_hi, v0
	v_xor_b32_e32 v0, vcc_lo, v0
	; wave barrier
	ds_read_b32 v13, v14 offset:16
	v_and_b32_e32 v1, v1, v19
	v_and_b32_e32 v0, v15, v0
	;; [unrolled: 1-line block ×3, first 2 shown]
	v_mbcnt_lo_u32_b32 v4, v0, 0
	v_mbcnt_hi_u32_b32 v15, v1, v4
	v_cmp_eq_u32_e32 vcc, 0, v15
	v_cmp_ne_u64_e64 s[0:1], 0, v[0:1]
	s_and_b64 s[2:3], s[0:1], vcc
	; wave barrier
	s_and_saveexec_b64 s[0:1], s[2:3]
	s_cbranch_execz .LBB19_134
; %bb.133:
	v_bcnt_u32_b32 v0, v0, 0
	v_bcnt_u32_b32 v0, v1, v0
	s_waitcnt lgkmcnt(0)
	v_add_u32_e32 v0, v13, v0
	ds_write_b32 v14, v0 offset:16
.LBB19_134:
	s_or_b64 exec, exec, s[0:1]
	v_mov_b32_e32 v24, 0xffff8000
	s_waitcnt vmcnt(9)
	v_cmp_lt_i16_e32 vcc, -1, v16
	v_cndmask_b32_e32 v0, -1, v24, vcc
	v_xor_b32_e32 v16, v0, v16
	s_movk_i32 s2, 0x7fff
	v_cmp_ne_u16_e32 vcc, s2, v16
	v_cndmask_b32_e32 v0, v24, v16, vcc
	v_lshrrev_b32_sdwa v0, s68, v0 dst_sel:DWORD dst_unused:UNUSED_PAD src0_sel:DWORD src1_sel:WORD_0
	v_and_b32_e32 v4, s9, v0
	v_and_b32_e32 v1, 1, v4
	v_add_co_u32_e32 v5, vcc, -1, v1
	v_addc_co_u32_e64 v22, s[0:1], 0, -1, vcc
	v_cmp_ne_u32_e32 vcc, 0, v1
	v_mul_u32_u24_e32 v0, 5, v4
	v_xor_b32_e32 v1, vcc_hi, v22
	v_add_lshl_u32 v20, v18, v0, 2
	v_mov_b32_e32 v0, 0
	v_and_b32_e32 v22, exec_hi, v1
	v_lshlrev_b32_e32 v1, 30, v4
	v_xor_b32_e32 v5, vcc_lo, v5
	v_cmp_gt_i64_e32 vcc, 0, v[0:1]
	v_not_b32_e32 v1, v1
	v_ashrrev_i32_e32 v1, 31, v1
	v_and_b32_e32 v5, exec_lo, v5
	v_xor_b32_e32 v25, vcc_hi, v1
	v_xor_b32_e32 v1, vcc_lo, v1
	v_and_b32_e32 v5, v5, v1
	v_lshlrev_b32_e32 v1, 29, v4
	v_cmp_gt_i64_e32 vcc, 0, v[0:1]
	v_not_b32_e32 v1, v1
	v_ashrrev_i32_e32 v1, 31, v1
	v_and_b32_e32 v22, v22, v25
	v_xor_b32_e32 v25, vcc_hi, v1
	v_xor_b32_e32 v1, vcc_lo, v1
	v_and_b32_e32 v5, v5, v1
	v_lshlrev_b32_e32 v1, 28, v4
	v_cmp_gt_i64_e32 vcc, 0, v[0:1]
	v_not_b32_e32 v1, v1
	v_ashrrev_i32_e32 v1, 31, v1
	v_and_b32_e32 v22, v22, v25
	;; [unrolled: 8-line block ×5, first 2 shown]
	v_xor_b32_e32 v25, vcc_hi, v1
	v_xor_b32_e32 v1, vcc_lo, v1
	v_and_b32_e32 v22, v22, v25
	v_and_b32_e32 v25, v5, v1
	v_lshlrev_b32_e32 v1, 24, v4
	v_cmp_gt_i64_e32 vcc, 0, v[0:1]
	v_not_b32_e32 v1, v1
	v_ashrrev_i32_e32 v1, 31, v1
	v_xor_b32_e32 v4, vcc_hi, v1
	v_xor_b32_e32 v1, vcc_lo, v1
	; wave barrier
	ds_read_b32 v19, v20 offset:16
	v_and_b32_e32 v5, v22, v4
	v_and_b32_e32 v4, v25, v1
	v_mbcnt_lo_u32_b32 v1, v4, 0
	v_mbcnt_hi_u32_b32 v22, v5, v1
	v_cmp_eq_u32_e32 vcc, 0, v22
	v_cmp_ne_u64_e64 s[0:1], 0, v[4:5]
	s_and_b64 s[4:5], s[0:1], vcc
	; wave barrier
	s_and_saveexec_b64 s[0:1], s[4:5]
	s_cbranch_execz .LBB19_136
; %bb.135:
	v_bcnt_u32_b32 v1, v4, 0
	v_bcnt_u32_b32 v1, v5, v1
	s_waitcnt lgkmcnt(0)
	v_add_u32_e32 v1, v19, v1
	ds_write_b32 v20, v1 offset:16
.LBB19_136:
	s_or_b64 exec, exec, s[0:1]
	s_waitcnt vmcnt(8)
	v_cmp_lt_i16_e32 vcc, -1, v21
	v_cndmask_b32_e32 v1, -1, v24, vcc
	v_xor_b32_e32 v21, v1, v21
	v_cmp_ne_u16_e32 vcc, s2, v21
	v_cndmask_b32_e32 v1, v24, v21, vcc
	v_lshrrev_b32_sdwa v1, s68, v1 dst_sel:DWORD dst_unused:UNUSED_PAD src0_sel:DWORD src1_sel:WORD_0
	v_and_b32_e32 v4, s9, v1
	v_mul_u32_u24_e32 v1, 5, v4
	v_add_lshl_u32 v25, v18, v1, 2
	v_and_b32_e32 v1, 1, v4
	v_add_co_u32_e32 v5, vcc, -1, v1
	v_addc_co_u32_e64 v27, s[0:1], 0, -1, vcc
	v_cmp_ne_u32_e32 vcc, 0, v1
	v_xor_b32_e32 v1, vcc_hi, v27
	v_and_b32_e32 v27, exec_hi, v1
	v_lshlrev_b32_e32 v1, 30, v4
	v_xor_b32_e32 v5, vcc_lo, v5
	v_cmp_gt_i64_e32 vcc, 0, v[0:1]
	v_not_b32_e32 v1, v1
	v_ashrrev_i32_e32 v1, 31, v1
	v_and_b32_e32 v5, exec_lo, v5
	v_xor_b32_e32 v29, vcc_hi, v1
	v_xor_b32_e32 v1, vcc_lo, v1
	v_and_b32_e32 v5, v5, v1
	v_lshlrev_b32_e32 v1, 29, v4
	v_cmp_gt_i64_e32 vcc, 0, v[0:1]
	v_not_b32_e32 v1, v1
	v_ashrrev_i32_e32 v1, 31, v1
	v_and_b32_e32 v27, v27, v29
	v_xor_b32_e32 v29, vcc_hi, v1
	v_xor_b32_e32 v1, vcc_lo, v1
	v_and_b32_e32 v5, v5, v1
	v_lshlrev_b32_e32 v1, 28, v4
	v_cmp_gt_i64_e32 vcc, 0, v[0:1]
	v_not_b32_e32 v1, v1
	v_ashrrev_i32_e32 v1, 31, v1
	v_and_b32_e32 v27, v27, v29
	;; [unrolled: 8-line block ×5, first 2 shown]
	v_xor_b32_e32 v29, vcc_hi, v1
	v_xor_b32_e32 v1, vcc_lo, v1
	v_and_b32_e32 v5, v5, v1
	v_lshlrev_b32_e32 v1, 24, v4
	v_cmp_gt_i64_e32 vcc, 0, v[0:1]
	v_not_b32_e32 v0, v1
	v_ashrrev_i32_e32 v0, 31, v0
	v_xor_b32_e32 v1, vcc_hi, v0
	v_xor_b32_e32 v0, vcc_lo, v0
	; wave barrier
	ds_read_b32 v24, v25 offset:16
	v_and_b32_e32 v27, v27, v29
	v_and_b32_e32 v0, v5, v0
	;; [unrolled: 1-line block ×3, first 2 shown]
	v_mbcnt_lo_u32_b32 v4, v0, 0
	v_mbcnt_hi_u32_b32 v27, v1, v4
	v_cmp_eq_u32_e32 vcc, 0, v27
	v_cmp_ne_u64_e64 s[0:1], 0, v[0:1]
	s_and_b64 s[2:3], s[0:1], vcc
	; wave barrier
	s_and_saveexec_b64 s[0:1], s[2:3]
	s_cbranch_execz .LBB19_138
; %bb.137:
	v_bcnt_u32_b32 v0, v0, 0
	v_bcnt_u32_b32 v0, v1, v0
	s_waitcnt lgkmcnt(0)
	v_add_u32_e32 v0, v24, v0
	ds_write_b32 v25, v0 offset:16
.LBB19_138:
	s_or_b64 exec, exec, s[0:1]
	v_mov_b32_e32 v34, 0xffff8000
	s_waitcnt vmcnt(7)
	v_cmp_lt_i16_e32 vcc, -1, v26
	v_cndmask_b32_e32 v0, -1, v34, vcc
	v_xor_b32_e32 v26, v0, v26
	s_movk_i32 s2, 0x7fff
	v_cmp_ne_u16_e32 vcc, s2, v26
	v_cndmask_b32_e32 v0, v34, v26, vcc
	v_lshrrev_b32_sdwa v0, s68, v0 dst_sel:DWORD dst_unused:UNUSED_PAD src0_sel:DWORD src1_sel:WORD_0
	v_and_b32_e32 v4, s9, v0
	v_and_b32_e32 v1, 1, v4
	v_add_co_u32_e32 v5, vcc, -1, v1
	v_addc_co_u32_e64 v32, s[0:1], 0, -1, vcc
	v_cmp_ne_u32_e32 vcc, 0, v1
	v_mul_u32_u24_e32 v0, 5, v4
	v_xor_b32_e32 v1, vcc_hi, v32
	v_add_lshl_u32 v30, v18, v0, 2
	v_mov_b32_e32 v0, 0
	v_and_b32_e32 v32, exec_hi, v1
	v_lshlrev_b32_e32 v1, 30, v4
	v_xor_b32_e32 v5, vcc_lo, v5
	v_cmp_gt_i64_e32 vcc, 0, v[0:1]
	v_not_b32_e32 v1, v1
	v_ashrrev_i32_e32 v1, 31, v1
	v_and_b32_e32 v5, exec_lo, v5
	v_xor_b32_e32 v35, vcc_hi, v1
	v_xor_b32_e32 v1, vcc_lo, v1
	v_and_b32_e32 v5, v5, v1
	v_lshlrev_b32_e32 v1, 29, v4
	v_cmp_gt_i64_e32 vcc, 0, v[0:1]
	v_not_b32_e32 v1, v1
	v_ashrrev_i32_e32 v1, 31, v1
	v_and_b32_e32 v32, v32, v35
	v_xor_b32_e32 v35, vcc_hi, v1
	v_xor_b32_e32 v1, vcc_lo, v1
	v_and_b32_e32 v5, v5, v1
	v_lshlrev_b32_e32 v1, 28, v4
	v_cmp_gt_i64_e32 vcc, 0, v[0:1]
	v_not_b32_e32 v1, v1
	v_ashrrev_i32_e32 v1, 31, v1
	v_and_b32_e32 v32, v32, v35
	;; [unrolled: 8-line block ×5, first 2 shown]
	v_xor_b32_e32 v35, vcc_hi, v1
	v_xor_b32_e32 v1, vcc_lo, v1
	v_and_b32_e32 v32, v32, v35
	v_and_b32_e32 v35, v5, v1
	v_lshlrev_b32_e32 v1, 24, v4
	v_cmp_gt_i64_e32 vcc, 0, v[0:1]
	v_not_b32_e32 v1, v1
	v_ashrrev_i32_e32 v1, 31, v1
	v_xor_b32_e32 v4, vcc_hi, v1
	v_xor_b32_e32 v1, vcc_lo, v1
	; wave barrier
	ds_read_b32 v29, v30 offset:16
	v_and_b32_e32 v5, v32, v4
	v_and_b32_e32 v4, v35, v1
	v_mbcnt_lo_u32_b32 v1, v4, 0
	v_mbcnt_hi_u32_b32 v32, v5, v1
	v_cmp_eq_u32_e32 vcc, 0, v32
	v_cmp_ne_u64_e64 s[0:1], 0, v[4:5]
	s_and_b64 s[4:5], s[0:1], vcc
	; wave barrier
	s_and_saveexec_b64 s[0:1], s[4:5]
	s_cbranch_execz .LBB19_140
; %bb.139:
	v_bcnt_u32_b32 v1, v4, 0
	v_bcnt_u32_b32 v1, v5, v1
	s_waitcnt lgkmcnt(0)
	v_add_u32_e32 v1, v29, v1
	ds_write_b32 v30, v1 offset:16
.LBB19_140:
	s_or_b64 exec, exec, s[0:1]
	s_waitcnt vmcnt(6)
	v_cmp_lt_i16_e32 vcc, -1, v31
	v_cndmask_b32_e32 v1, -1, v34, vcc
	v_xor_b32_e32 v31, v1, v31
	v_cmp_ne_u16_e32 vcc, s2, v31
	v_cndmask_b32_e32 v1, v34, v31, vcc
	v_lshrrev_b32_sdwa v1, s68, v1 dst_sel:DWORD dst_unused:UNUSED_PAD src0_sel:DWORD src1_sel:WORD_0
	v_and_b32_e32 v4, s9, v1
	v_mul_u32_u24_e32 v1, 5, v4
	v_add_lshl_u32 v35, v18, v1, 2
	v_and_b32_e32 v1, 1, v4
	v_add_co_u32_e32 v5, vcc, -1, v1
	v_addc_co_u32_e64 v37, s[0:1], 0, -1, vcc
	v_cmp_ne_u32_e32 vcc, 0, v1
	v_xor_b32_e32 v1, vcc_hi, v37
	v_and_b32_e32 v37, exec_hi, v1
	v_lshlrev_b32_e32 v1, 30, v4
	v_xor_b32_e32 v5, vcc_lo, v5
	v_cmp_gt_i64_e32 vcc, 0, v[0:1]
	v_not_b32_e32 v1, v1
	v_ashrrev_i32_e32 v1, 31, v1
	v_and_b32_e32 v5, exec_lo, v5
	v_xor_b32_e32 v39, vcc_hi, v1
	v_xor_b32_e32 v1, vcc_lo, v1
	v_and_b32_e32 v5, v5, v1
	v_lshlrev_b32_e32 v1, 29, v4
	v_cmp_gt_i64_e32 vcc, 0, v[0:1]
	v_not_b32_e32 v1, v1
	v_ashrrev_i32_e32 v1, 31, v1
	v_and_b32_e32 v37, v37, v39
	v_xor_b32_e32 v39, vcc_hi, v1
	v_xor_b32_e32 v1, vcc_lo, v1
	v_and_b32_e32 v5, v5, v1
	v_lshlrev_b32_e32 v1, 28, v4
	v_cmp_gt_i64_e32 vcc, 0, v[0:1]
	v_not_b32_e32 v1, v1
	v_ashrrev_i32_e32 v1, 31, v1
	v_and_b32_e32 v37, v37, v39
	v_xor_b32_e32 v39, vcc_hi, v1
	v_xor_b32_e32 v1, vcc_lo, v1
	v_and_b32_e32 v5, v5, v1
	v_lshlrev_b32_e32 v1, 27, v4
	v_cmp_gt_i64_e32 vcc, 0, v[0:1]
	v_not_b32_e32 v1, v1
	v_ashrrev_i32_e32 v1, 31, v1
	v_and_b32_e32 v37, v37, v39
	v_xor_b32_e32 v39, vcc_hi, v1
	v_xor_b32_e32 v1, vcc_lo, v1
	v_and_b32_e32 v5, v5, v1
	v_lshlrev_b32_e32 v1, 26, v4
	v_cmp_gt_i64_e32 vcc, 0, v[0:1]
	v_not_b32_e32 v1, v1
	v_ashrrev_i32_e32 v1, 31, v1
	v_and_b32_e32 v37, v37, v39
	v_xor_b32_e32 v39, vcc_hi, v1
	v_xor_b32_e32 v1, vcc_lo, v1
	v_and_b32_e32 v5, v5, v1
	v_lshlrev_b32_e32 v1, 25, v4
	v_cmp_gt_i64_e32 vcc, 0, v[0:1]
	v_not_b32_e32 v1, v1
	v_ashrrev_i32_e32 v1, 31, v1
	v_and_b32_e32 v37, v37, v39
	v_xor_b32_e32 v39, vcc_hi, v1
	v_xor_b32_e32 v1, vcc_lo, v1
	v_and_b32_e32 v5, v5, v1
	v_lshlrev_b32_e32 v1, 24, v4
	v_cmp_gt_i64_e32 vcc, 0, v[0:1]
	v_not_b32_e32 v0, v1
	v_ashrrev_i32_e32 v0, 31, v0
	v_xor_b32_e32 v1, vcc_hi, v0
	v_xor_b32_e32 v0, vcc_lo, v0
	; wave barrier
	ds_read_b32 v34, v35 offset:16
	v_and_b32_e32 v37, v37, v39
	v_and_b32_e32 v0, v5, v0
	;; [unrolled: 1-line block ×3, first 2 shown]
	v_mbcnt_lo_u32_b32 v4, v0, 0
	v_mbcnt_hi_u32_b32 v37, v1, v4
	v_cmp_eq_u32_e32 vcc, 0, v37
	v_cmp_ne_u64_e64 s[0:1], 0, v[0:1]
	s_and_b64 s[2:3], s[0:1], vcc
	; wave barrier
	s_and_saveexec_b64 s[0:1], s[2:3]
	s_cbranch_execz .LBB19_142
; %bb.141:
	v_bcnt_u32_b32 v0, v0, 0
	v_bcnt_u32_b32 v0, v1, v0
	s_waitcnt lgkmcnt(0)
	v_add_u32_e32 v0, v34, v0
	ds_write_b32 v35, v0 offset:16
.LBB19_142:
	s_or_b64 exec, exec, s[0:1]
	v_mov_b32_e32 v42, 0xffff8000
	s_waitcnt vmcnt(5)
	v_cmp_lt_i16_e32 vcc, -1, v36
	v_cndmask_b32_e32 v0, -1, v42, vcc
	v_xor_b32_e32 v36, v0, v36
	s_movk_i32 s2, 0x7fff
	v_cmp_ne_u16_e32 vcc, s2, v36
	v_cndmask_b32_e32 v0, v42, v36, vcc
	v_lshrrev_b32_sdwa v0, s68, v0 dst_sel:DWORD dst_unused:UNUSED_PAD src0_sel:DWORD src1_sel:WORD_0
	v_and_b32_e32 v4, s9, v0
	v_and_b32_e32 v1, 1, v4
	v_add_co_u32_e32 v5, vcc, -1, v1
	v_addc_co_u32_e64 v41, s[0:1], 0, -1, vcc
	v_cmp_ne_u32_e32 vcc, 0, v1
	v_mul_u32_u24_e32 v0, 5, v4
	v_xor_b32_e32 v1, vcc_hi, v41
	v_add_lshl_u32 v40, v18, v0, 2
	v_mov_b32_e32 v0, 0
	v_and_b32_e32 v41, exec_hi, v1
	v_lshlrev_b32_e32 v1, 30, v4
	v_xor_b32_e32 v5, vcc_lo, v5
	v_cmp_gt_i64_e32 vcc, 0, v[0:1]
	v_not_b32_e32 v1, v1
	v_ashrrev_i32_e32 v1, 31, v1
	v_and_b32_e32 v5, exec_lo, v5
	v_xor_b32_e32 v43, vcc_hi, v1
	v_xor_b32_e32 v1, vcc_lo, v1
	v_and_b32_e32 v5, v5, v1
	v_lshlrev_b32_e32 v1, 29, v4
	v_cmp_gt_i64_e32 vcc, 0, v[0:1]
	v_not_b32_e32 v1, v1
	v_ashrrev_i32_e32 v1, 31, v1
	v_and_b32_e32 v41, v41, v43
	v_xor_b32_e32 v43, vcc_hi, v1
	v_xor_b32_e32 v1, vcc_lo, v1
	v_and_b32_e32 v5, v5, v1
	v_lshlrev_b32_e32 v1, 28, v4
	v_cmp_gt_i64_e32 vcc, 0, v[0:1]
	v_not_b32_e32 v1, v1
	v_ashrrev_i32_e32 v1, 31, v1
	v_and_b32_e32 v41, v41, v43
	;; [unrolled: 8-line block ×5, first 2 shown]
	v_xor_b32_e32 v43, vcc_hi, v1
	v_xor_b32_e32 v1, vcc_lo, v1
	v_and_b32_e32 v41, v41, v43
	v_and_b32_e32 v43, v5, v1
	v_lshlrev_b32_e32 v1, 24, v4
	v_cmp_gt_i64_e32 vcc, 0, v[0:1]
	v_not_b32_e32 v1, v1
	v_ashrrev_i32_e32 v1, 31, v1
	v_xor_b32_e32 v4, vcc_hi, v1
	v_xor_b32_e32 v1, vcc_lo, v1
	; wave barrier
	ds_read_b32 v39, v40 offset:16
	v_and_b32_e32 v5, v41, v4
	v_and_b32_e32 v4, v43, v1
	v_mbcnt_lo_u32_b32 v1, v4, 0
	v_mbcnt_hi_u32_b32 v41, v5, v1
	v_cmp_eq_u32_e32 vcc, 0, v41
	v_cmp_ne_u64_e64 s[0:1], 0, v[4:5]
	s_and_b64 s[4:5], s[0:1], vcc
	; wave barrier
	s_and_saveexec_b64 s[0:1], s[4:5]
	s_cbranch_execz .LBB19_144
; %bb.143:
	v_bcnt_u32_b32 v1, v4, 0
	v_bcnt_u32_b32 v1, v5, v1
	s_waitcnt lgkmcnt(0)
	v_add_u32_e32 v1, v39, v1
	ds_write_b32 v40, v1 offset:16
.LBB19_144:
	s_or_b64 exec, exec, s[0:1]
	s_waitcnt vmcnt(4)
	v_cmp_lt_i16_e32 vcc, -1, v38
	v_cndmask_b32_e32 v1, -1, v42, vcc
	v_xor_b32_e32 v38, v1, v38
	v_cmp_ne_u16_e32 vcc, s2, v38
	v_cndmask_b32_e32 v1, v42, v38, vcc
	v_lshrrev_b32_sdwa v1, s68, v1 dst_sel:DWORD dst_unused:UNUSED_PAD src0_sel:DWORD src1_sel:WORD_0
	v_and_b32_e32 v4, s9, v1
	v_mul_u32_u24_e32 v1, 5, v4
	v_add_lshl_u32 v43, v18, v1, 2
	v_and_b32_e32 v1, 1, v4
	v_add_co_u32_e32 v5, vcc, -1, v1
	v_addc_co_u32_e64 v44, s[0:1], 0, -1, vcc
	v_cmp_ne_u32_e32 vcc, 0, v1
	v_xor_b32_e32 v1, vcc_hi, v44
	v_and_b32_e32 v44, exec_hi, v1
	v_lshlrev_b32_e32 v1, 30, v4
	v_xor_b32_e32 v5, vcc_lo, v5
	v_cmp_gt_i64_e32 vcc, 0, v[0:1]
	v_not_b32_e32 v1, v1
	v_ashrrev_i32_e32 v1, 31, v1
	v_and_b32_e32 v5, exec_lo, v5
	v_xor_b32_e32 v45, vcc_hi, v1
	v_xor_b32_e32 v1, vcc_lo, v1
	v_and_b32_e32 v5, v5, v1
	v_lshlrev_b32_e32 v1, 29, v4
	v_cmp_gt_i64_e32 vcc, 0, v[0:1]
	v_not_b32_e32 v1, v1
	v_ashrrev_i32_e32 v1, 31, v1
	v_and_b32_e32 v44, v44, v45
	v_xor_b32_e32 v45, vcc_hi, v1
	v_xor_b32_e32 v1, vcc_lo, v1
	v_and_b32_e32 v5, v5, v1
	v_lshlrev_b32_e32 v1, 28, v4
	v_cmp_gt_i64_e32 vcc, 0, v[0:1]
	v_not_b32_e32 v1, v1
	v_ashrrev_i32_e32 v1, 31, v1
	v_and_b32_e32 v44, v44, v45
	v_xor_b32_e32 v45, vcc_hi, v1
	v_xor_b32_e32 v1, vcc_lo, v1
	v_and_b32_e32 v5, v5, v1
	v_lshlrev_b32_e32 v1, 27, v4
	v_cmp_gt_i64_e32 vcc, 0, v[0:1]
	v_not_b32_e32 v1, v1
	v_ashrrev_i32_e32 v1, 31, v1
	v_and_b32_e32 v44, v44, v45
	v_xor_b32_e32 v45, vcc_hi, v1
	v_xor_b32_e32 v1, vcc_lo, v1
	v_and_b32_e32 v5, v5, v1
	v_lshlrev_b32_e32 v1, 26, v4
	v_cmp_gt_i64_e32 vcc, 0, v[0:1]
	v_not_b32_e32 v1, v1
	v_ashrrev_i32_e32 v1, 31, v1
	v_and_b32_e32 v44, v44, v45
	v_xor_b32_e32 v45, vcc_hi, v1
	v_xor_b32_e32 v1, vcc_lo, v1
	v_and_b32_e32 v5, v5, v1
	v_lshlrev_b32_e32 v1, 25, v4
	v_cmp_gt_i64_e32 vcc, 0, v[0:1]
	v_not_b32_e32 v1, v1
	v_ashrrev_i32_e32 v1, 31, v1
	v_and_b32_e32 v44, v44, v45
	v_xor_b32_e32 v45, vcc_hi, v1
	v_xor_b32_e32 v1, vcc_lo, v1
	v_and_b32_e32 v5, v5, v1
	v_lshlrev_b32_e32 v1, 24, v4
	v_cmp_gt_i64_e32 vcc, 0, v[0:1]
	v_not_b32_e32 v0, v1
	v_ashrrev_i32_e32 v0, 31, v0
	v_xor_b32_e32 v1, vcc_hi, v0
	v_xor_b32_e32 v0, vcc_lo, v0
	; wave barrier
	ds_read_b32 v42, v43 offset:16
	v_and_b32_e32 v44, v44, v45
	v_and_b32_e32 v0, v5, v0
	;; [unrolled: 1-line block ×3, first 2 shown]
	v_mbcnt_lo_u32_b32 v4, v0, 0
	v_mbcnt_hi_u32_b32 v44, v1, v4
	v_cmp_eq_u32_e32 vcc, 0, v44
	v_cmp_ne_u64_e64 s[0:1], 0, v[0:1]
	s_and_b64 s[2:3], s[0:1], vcc
	; wave barrier
	s_and_saveexec_b64 s[0:1], s[2:3]
	s_cbranch_execz .LBB19_146
; %bb.145:
	v_bcnt_u32_b32 v0, v0, 0
	v_bcnt_u32_b32 v0, v1, v0
	s_waitcnt lgkmcnt(0)
	v_add_u32_e32 v0, v42, v0
	ds_write_b32 v43, v0 offset:16
.LBB19_146:
	s_or_b64 exec, exec, s[0:1]
	v_mov_b32_e32 v49, 0xffff8000
	s_waitcnt vmcnt(3)
	v_cmp_lt_i16_e32 vcc, -1, v33
	v_cndmask_b32_e32 v0, -1, v49, vcc
	v_xor_b32_e32 v33, v0, v33
	s_movk_i32 s2, 0x7fff
	v_cmp_ne_u16_e32 vcc, s2, v33
	v_cndmask_b32_e32 v0, v49, v33, vcc
	v_lshrrev_b32_sdwa v0, s68, v0 dst_sel:DWORD dst_unused:UNUSED_PAD src0_sel:DWORD src1_sel:WORD_0
	v_and_b32_e32 v4, s9, v0
	v_and_b32_e32 v1, 1, v4
	v_add_co_u32_e32 v5, vcc, -1, v1
	v_addc_co_u32_e64 v47, s[0:1], 0, -1, vcc
	v_cmp_ne_u32_e32 vcc, 0, v1
	v_mul_u32_u24_e32 v0, 5, v4
	v_xor_b32_e32 v1, vcc_hi, v47
	v_add_lshl_u32 v46, v18, v0, 2
	v_mov_b32_e32 v0, 0
	v_and_b32_e32 v47, exec_hi, v1
	v_lshlrev_b32_e32 v1, 30, v4
	v_xor_b32_e32 v5, vcc_lo, v5
	v_cmp_gt_i64_e32 vcc, 0, v[0:1]
	v_not_b32_e32 v1, v1
	v_ashrrev_i32_e32 v1, 31, v1
	v_and_b32_e32 v5, exec_lo, v5
	v_xor_b32_e32 v48, vcc_hi, v1
	v_xor_b32_e32 v1, vcc_lo, v1
	v_and_b32_e32 v5, v5, v1
	v_lshlrev_b32_e32 v1, 29, v4
	v_cmp_gt_i64_e32 vcc, 0, v[0:1]
	v_not_b32_e32 v1, v1
	v_ashrrev_i32_e32 v1, 31, v1
	v_and_b32_e32 v47, v47, v48
	v_xor_b32_e32 v48, vcc_hi, v1
	v_xor_b32_e32 v1, vcc_lo, v1
	v_and_b32_e32 v5, v5, v1
	v_lshlrev_b32_e32 v1, 28, v4
	v_cmp_gt_i64_e32 vcc, 0, v[0:1]
	v_not_b32_e32 v1, v1
	v_ashrrev_i32_e32 v1, 31, v1
	v_and_b32_e32 v47, v47, v48
	;; [unrolled: 8-line block ×5, first 2 shown]
	v_xor_b32_e32 v48, vcc_hi, v1
	v_xor_b32_e32 v1, vcc_lo, v1
	v_and_b32_e32 v47, v47, v48
	v_and_b32_e32 v48, v5, v1
	v_lshlrev_b32_e32 v1, 24, v4
	v_cmp_gt_i64_e32 vcc, 0, v[0:1]
	v_not_b32_e32 v1, v1
	v_ashrrev_i32_e32 v1, 31, v1
	v_xor_b32_e32 v4, vcc_hi, v1
	v_xor_b32_e32 v1, vcc_lo, v1
	; wave barrier
	ds_read_b32 v45, v46 offset:16
	v_and_b32_e32 v5, v47, v4
	v_and_b32_e32 v4, v48, v1
	v_mbcnt_lo_u32_b32 v1, v4, 0
	v_mbcnt_hi_u32_b32 v48, v5, v1
	v_cmp_eq_u32_e32 vcc, 0, v48
	v_cmp_ne_u64_e64 s[0:1], 0, v[4:5]
	s_and_b64 s[4:5], s[0:1], vcc
	; wave barrier
	s_and_saveexec_b64 s[0:1], s[4:5]
	s_cbranch_execz .LBB19_148
; %bb.147:
	v_bcnt_u32_b32 v1, v4, 0
	v_bcnt_u32_b32 v1, v5, v1
	s_waitcnt lgkmcnt(0)
	v_add_u32_e32 v1, v45, v1
	ds_write_b32 v46, v1 offset:16
.LBB19_148:
	s_or_b64 exec, exec, s[0:1]
	s_waitcnt vmcnt(2)
	v_cmp_lt_i16_e32 vcc, -1, v28
	v_cndmask_b32_e32 v1, -1, v49, vcc
	v_xor_b32_e32 v47, v1, v28
	v_cmp_ne_u16_e32 vcc, s2, v47
	v_cndmask_b32_e32 v1, v49, v47, vcc
	v_lshrrev_b32_sdwa v1, s68, v1 dst_sel:DWORD dst_unused:UNUSED_PAD src0_sel:DWORD src1_sel:WORD_0
	v_and_b32_e32 v4, s9, v1
	v_mul_u32_u24_e32 v1, 5, v4
	v_add_lshl_u32 v28, v18, v1, 2
	v_and_b32_e32 v1, 1, v4
	v_add_co_u32_e32 v5, vcc, -1, v1
	v_addc_co_u32_e64 v50, s[0:1], 0, -1, vcc
	v_cmp_ne_u32_e32 vcc, 0, v1
	v_xor_b32_e32 v1, vcc_hi, v50
	v_and_b32_e32 v50, exec_hi, v1
	v_lshlrev_b32_e32 v1, 30, v4
	v_xor_b32_e32 v5, vcc_lo, v5
	v_cmp_gt_i64_e32 vcc, 0, v[0:1]
	v_not_b32_e32 v1, v1
	v_ashrrev_i32_e32 v1, 31, v1
	v_and_b32_e32 v5, exec_lo, v5
	v_xor_b32_e32 v51, vcc_hi, v1
	v_xor_b32_e32 v1, vcc_lo, v1
	v_and_b32_e32 v5, v5, v1
	v_lshlrev_b32_e32 v1, 29, v4
	v_cmp_gt_i64_e32 vcc, 0, v[0:1]
	v_not_b32_e32 v1, v1
	v_ashrrev_i32_e32 v1, 31, v1
	v_and_b32_e32 v50, v50, v51
	v_xor_b32_e32 v51, vcc_hi, v1
	v_xor_b32_e32 v1, vcc_lo, v1
	v_and_b32_e32 v5, v5, v1
	v_lshlrev_b32_e32 v1, 28, v4
	v_cmp_gt_i64_e32 vcc, 0, v[0:1]
	v_not_b32_e32 v1, v1
	v_ashrrev_i32_e32 v1, 31, v1
	v_and_b32_e32 v50, v50, v51
	;; [unrolled: 8-line block ×5, first 2 shown]
	v_xor_b32_e32 v51, vcc_hi, v1
	v_xor_b32_e32 v1, vcc_lo, v1
	v_and_b32_e32 v5, v5, v1
	v_lshlrev_b32_e32 v1, 24, v4
	v_cmp_gt_i64_e32 vcc, 0, v[0:1]
	v_not_b32_e32 v0, v1
	v_ashrrev_i32_e32 v0, 31, v0
	v_xor_b32_e32 v1, vcc_hi, v0
	v_xor_b32_e32 v0, vcc_lo, v0
	; wave barrier
	ds_read_b32 v49, v28 offset:16
	v_and_b32_e32 v50, v50, v51
	v_and_b32_e32 v0, v5, v0
	;; [unrolled: 1-line block ×3, first 2 shown]
	v_mbcnt_lo_u32_b32 v4, v0, 0
	v_mbcnt_hi_u32_b32 v51, v1, v4
	v_cmp_eq_u32_e32 vcc, 0, v51
	v_cmp_ne_u64_e64 s[0:1], 0, v[0:1]
	s_and_b64 s[2:3], s[0:1], vcc
	; wave barrier
	s_and_saveexec_b64 s[0:1], s[2:3]
	s_cbranch_execz .LBB19_150
; %bb.149:
	v_bcnt_u32_b32 v0, v0, 0
	v_bcnt_u32_b32 v0, v1, v0
	s_waitcnt lgkmcnt(0)
	v_add_u32_e32 v0, v49, v0
	ds_write_b32 v28, v0 offset:16
.LBB19_150:
	s_or_b64 exec, exec, s[0:1]
	v_mov_b32_e32 v55, 0xffff8000
	s_waitcnt vmcnt(1)
	v_cmp_lt_i16_e32 vcc, -1, v23
	v_cndmask_b32_e32 v0, -1, v55, vcc
	v_xor_b32_e32 v50, v0, v23
	s_movk_i32 s2, 0x7fff
	v_cmp_ne_u16_e32 vcc, s2, v50
	v_cndmask_b32_e32 v0, v55, v50, vcc
	v_lshrrev_b32_sdwa v0, s68, v0 dst_sel:DWORD dst_unused:UNUSED_PAD src0_sel:DWORD src1_sel:WORD_0
	v_and_b32_e32 v4, s9, v0
	v_and_b32_e32 v1, 1, v4
	v_add_co_u32_e32 v5, vcc, -1, v1
	v_addc_co_u32_e64 v53, s[0:1], 0, -1, vcc
	v_cmp_ne_u32_e32 vcc, 0, v1
	v_mul_u32_u24_e32 v0, 5, v4
	v_xor_b32_e32 v1, vcc_hi, v53
	v_add_lshl_u32 v23, v0, v18, 2
	v_mov_b32_e32 v0, 0
	v_and_b32_e32 v53, exec_hi, v1
	v_lshlrev_b32_e32 v1, 30, v4
	v_xor_b32_e32 v5, vcc_lo, v5
	v_cmp_gt_i64_e32 vcc, 0, v[0:1]
	v_not_b32_e32 v1, v1
	v_ashrrev_i32_e32 v1, 31, v1
	v_and_b32_e32 v5, exec_lo, v5
	v_xor_b32_e32 v54, vcc_hi, v1
	v_xor_b32_e32 v1, vcc_lo, v1
	v_and_b32_e32 v5, v5, v1
	v_lshlrev_b32_e32 v1, 29, v4
	v_cmp_gt_i64_e32 vcc, 0, v[0:1]
	v_not_b32_e32 v1, v1
	v_ashrrev_i32_e32 v1, 31, v1
	v_and_b32_e32 v53, v53, v54
	v_xor_b32_e32 v54, vcc_hi, v1
	v_xor_b32_e32 v1, vcc_lo, v1
	v_and_b32_e32 v5, v5, v1
	v_lshlrev_b32_e32 v1, 28, v4
	v_cmp_gt_i64_e32 vcc, 0, v[0:1]
	v_not_b32_e32 v1, v1
	v_ashrrev_i32_e32 v1, 31, v1
	v_and_b32_e32 v53, v53, v54
	v_xor_b32_e32 v54, vcc_hi, v1
	v_xor_b32_e32 v1, vcc_lo, v1
	v_and_b32_e32 v5, v5, v1
	v_lshlrev_b32_e32 v1, 27, v4
	v_cmp_gt_i64_e32 vcc, 0, v[0:1]
	v_not_b32_e32 v1, v1
	v_ashrrev_i32_e32 v1, 31, v1
	v_and_b32_e32 v53, v53, v54
	v_xor_b32_e32 v54, vcc_hi, v1
	v_xor_b32_e32 v1, vcc_lo, v1
	v_and_b32_e32 v5, v5, v1
	v_lshlrev_b32_e32 v1, 26, v4
	v_cmp_gt_i64_e32 vcc, 0, v[0:1]
	v_not_b32_e32 v1, v1
	v_ashrrev_i32_e32 v1, 31, v1
	v_and_b32_e32 v53, v53, v54
	v_xor_b32_e32 v54, vcc_hi, v1
	v_xor_b32_e32 v1, vcc_lo, v1
	v_and_b32_e32 v5, v5, v1
	v_lshlrev_b32_e32 v1, 25, v4
	v_cmp_gt_i64_e32 vcc, 0, v[0:1]
	v_not_b32_e32 v1, v1
	v_ashrrev_i32_e32 v1, 31, v1
	v_and_b32_e32 v53, v53, v54
	v_xor_b32_e32 v54, vcc_hi, v1
	v_xor_b32_e32 v1, vcc_lo, v1
	v_and_b32_e32 v53, v53, v54
	v_and_b32_e32 v54, v5, v1
	v_lshlrev_b32_e32 v1, 24, v4
	v_cmp_gt_i64_e32 vcc, 0, v[0:1]
	v_not_b32_e32 v1, v1
	v_ashrrev_i32_e32 v1, 31, v1
	v_xor_b32_e32 v4, vcc_hi, v1
	v_xor_b32_e32 v1, vcc_lo, v1
	; wave barrier
	ds_read_b32 v52, v23 offset:16
	v_and_b32_e32 v5, v53, v4
	v_and_b32_e32 v4, v54, v1
	v_mbcnt_lo_u32_b32 v1, v4, 0
	v_mbcnt_hi_u32_b32 v54, v5, v1
	v_cmp_eq_u32_e32 vcc, 0, v54
	v_cmp_ne_u64_e64 s[0:1], 0, v[4:5]
	s_and_b64 s[4:5], s[0:1], vcc
	; wave barrier
	s_and_saveexec_b64 s[0:1], s[4:5]
	s_cbranch_execz .LBB19_152
; %bb.151:
	v_bcnt_u32_b32 v1, v4, 0
	v_bcnt_u32_b32 v1, v5, v1
	s_waitcnt lgkmcnt(0)
	v_add_u32_e32 v1, v52, v1
	ds_write_b32 v23, v1 offset:16
.LBB19_152:
	s_or_b64 exec, exec, s[0:1]
	s_waitcnt vmcnt(0)
	v_cmp_lt_i16_e32 vcc, -1, v17
	v_cndmask_b32_e32 v1, -1, v55, vcc
	v_xor_b32_e32 v53, v1, v17
	v_cmp_ne_u16_e32 vcc, s2, v53
	v_cndmask_b32_e32 v1, v55, v53, vcc
	v_lshrrev_b32_sdwa v1, s68, v1 dst_sel:DWORD dst_unused:UNUSED_PAD src0_sel:DWORD src1_sel:WORD_0
	v_and_b32_e32 v4, s9, v1
	v_mul_u32_u24_e32 v1, 5, v4
	v_add_lshl_u32 v17, v1, v18, 2
	v_and_b32_e32 v1, 1, v4
	v_add_co_u32_e32 v5, vcc, -1, v1
	v_addc_co_u32_e64 v18, s[0:1], 0, -1, vcc
	v_cmp_ne_u32_e32 vcc, 0, v1
	v_xor_b32_e32 v1, vcc_hi, v18
	v_and_b32_e32 v18, exec_hi, v1
	v_lshlrev_b32_e32 v1, 30, v4
	v_xor_b32_e32 v5, vcc_lo, v5
	v_cmp_gt_i64_e32 vcc, 0, v[0:1]
	v_not_b32_e32 v1, v1
	v_ashrrev_i32_e32 v1, 31, v1
	v_and_b32_e32 v5, exec_lo, v5
	v_xor_b32_e32 v57, vcc_hi, v1
	v_xor_b32_e32 v1, vcc_lo, v1
	v_and_b32_e32 v5, v5, v1
	v_lshlrev_b32_e32 v1, 29, v4
	v_cmp_gt_i64_e32 vcc, 0, v[0:1]
	v_not_b32_e32 v1, v1
	v_ashrrev_i32_e32 v1, 31, v1
	v_and_b32_e32 v18, v18, v57
	v_xor_b32_e32 v57, vcc_hi, v1
	v_xor_b32_e32 v1, vcc_lo, v1
	v_and_b32_e32 v5, v5, v1
	v_lshlrev_b32_e32 v1, 28, v4
	v_cmp_gt_i64_e32 vcc, 0, v[0:1]
	v_not_b32_e32 v1, v1
	v_ashrrev_i32_e32 v1, 31, v1
	v_and_b32_e32 v18, v18, v57
	;; [unrolled: 8-line block ×5, first 2 shown]
	v_xor_b32_e32 v57, vcc_hi, v1
	v_xor_b32_e32 v1, vcc_lo, v1
	v_and_b32_e32 v5, v5, v1
	v_lshlrev_b32_e32 v1, 24, v4
	v_cmp_gt_i64_e32 vcc, 0, v[0:1]
	v_not_b32_e32 v0, v1
	v_ashrrev_i32_e32 v0, 31, v0
	v_xor_b32_e32 v1, vcc_hi, v0
	v_xor_b32_e32 v0, vcc_lo, v0
	; wave barrier
	ds_read_b32 v55, v17 offset:16
	v_and_b32_e32 v18, v18, v57
	v_and_b32_e32 v0, v5, v0
	v_and_b32_e32 v1, v18, v1
	v_mbcnt_lo_u32_b32 v4, v0, 0
	v_mbcnt_hi_u32_b32 v57, v1, v4
	v_cmp_eq_u32_e32 vcc, 0, v57
	v_cmp_ne_u64_e64 s[0:1], 0, v[0:1]
	v_add_u32_e32 v56, 16, v6
	s_and_b64 s[2:3], s[0:1], vcc
	; wave barrier
	s_and_saveexec_b64 s[0:1], s[2:3]
	s_cbranch_execz .LBB19_154
; %bb.153:
	v_bcnt_u32_b32 v0, v0, 0
	v_bcnt_u32_b32 v0, v1, v0
	s_waitcnt lgkmcnt(0)
	v_add_u32_e32 v0, v55, v0
	ds_write_b32 v17, v0 offset:16
.LBB19_154:
	s_or_b64 exec, exec, s[0:1]
	; wave barrier
	s_waitcnt lgkmcnt(0)
	s_barrier
	ds_read2_b32 v[4:5], v6 offset0:4 offset1:5
	ds_read2_b32 v[0:1], v56 offset0:2 offset1:3
	ds_read_b32 v18, v56 offset:16
	v_min_u32_e32 v7, 0xc0, v7
	v_or_b32_e32 v7, 63, v7
	s_waitcnt lgkmcnt(1)
	v_add3_u32 v58, v5, v4, v0
	s_waitcnt lgkmcnt(0)
	v_add3_u32 v18, v58, v1, v18
	v_and_b32_e32 v58, 15, v11
	v_cmp_ne_u32_e32 vcc, 0, v58
	v_mov_b32_dpp v59, v18 row_shr:1 row_mask:0xf bank_mask:0xf
	v_cndmask_b32_e32 v59, 0, v59, vcc
	v_add_u32_e32 v18, v59, v18
	v_cmp_lt_u32_e32 vcc, 1, v58
	s_nop 0
	v_mov_b32_dpp v59, v18 row_shr:2 row_mask:0xf bank_mask:0xf
	v_cndmask_b32_e32 v59, 0, v59, vcc
	v_add_u32_e32 v18, v18, v59
	v_cmp_lt_u32_e32 vcc, 3, v58
	s_nop 0
	;; [unrolled: 5-line block ×3, first 2 shown]
	v_mov_b32_dpp v59, v18 row_shr:8 row_mask:0xf bank_mask:0xf
	v_cndmask_b32_e32 v58, 0, v59, vcc
	v_add_u32_e32 v18, v18, v58
	v_bfe_i32 v59, v11, 4, 1
	v_cmp_lt_u32_e32 vcc, 31, v11
	v_mov_b32_dpp v58, v18 row_bcast:15 row_mask:0xf bank_mask:0xf
	v_and_b32_e32 v58, v59, v58
	v_add_u32_e32 v18, v18, v58
	s_nop 1
	v_mov_b32_dpp v58, v18 row_bcast:31 row_mask:0xf bank_mask:0xf
	v_cndmask_b32_e32 v58, 0, v58, vcc
	v_add_u32_e32 v18, v18, v58
	v_lshrrev_b32_e32 v58, 6, v2
	v_cmp_eq_u32_e32 vcc, v7, v2
	s_and_saveexec_b64 s[0:1], vcc
	s_cbranch_execz .LBB19_156
; %bb.155:
	v_lshlrev_b32_e32 v7, 2, v58
	ds_write_b32 v7, v18
.LBB19_156:
	s_or_b64 exec, exec, s[0:1]
	v_cmp_gt_u32_e32 vcc, 4, v2
	s_waitcnt lgkmcnt(0)
	s_barrier
	s_and_saveexec_b64 s[0:1], vcc
	s_cbranch_execz .LBB19_158
; %bb.157:
	v_lshlrev_b32_e32 v7, 2, v2
	ds_read_b32 v59, v7
	v_and_b32_e32 v60, 3, v11
	v_cmp_ne_u32_e32 vcc, 0, v60
	s_waitcnt lgkmcnt(0)
	v_mov_b32_dpp v61, v59 row_shr:1 row_mask:0xf bank_mask:0xf
	v_cndmask_b32_e32 v61, 0, v61, vcc
	v_add_u32_e32 v59, v61, v59
	v_cmp_lt_u32_e32 vcc, 1, v60
	s_nop 0
	v_mov_b32_dpp v61, v59 row_shr:2 row_mask:0xf bank_mask:0xf
	v_cndmask_b32_e32 v60, 0, v61, vcc
	v_add_u32_e32 v59, v59, v60
	ds_write_b32 v7, v59
.LBB19_158:
	s_or_b64 exec, exec, s[0:1]
	v_cmp_lt_u32_e32 vcc, 63, v2
	v_mov_b32_e32 v7, 0
	s_waitcnt lgkmcnt(0)
	s_barrier
	s_and_saveexec_b64 s[0:1], vcc
	s_cbranch_execz .LBB19_160
; %bb.159:
	v_lshl_add_u32 v7, v58, 2, -4
	ds_read_b32 v7, v7
.LBB19_160:
	s_or_b64 exec, exec, s[0:1]
	v_add_u32_e32 v58, -1, v11
	v_and_b32_e32 v59, 64, v11
	v_cmp_lt_i32_e32 vcc, v58, v59
	v_cndmask_b32_e32 v58, v58, v11, vcc
	s_waitcnt lgkmcnt(0)
	v_add_u32_e32 v18, v7, v18
	v_lshlrev_b32_e32 v58, 2, v58
	ds_bpermute_b32 v18, v58, v18
	v_cmp_eq_u32_e32 vcc, 0, v11
	s_movk_i32 s0, 0x100
	s_waitcnt lgkmcnt(0)
	v_cndmask_b32_e32 v7, v18, v7, vcc
	v_cmp_ne_u32_e32 vcc, 0, v2
	v_cndmask_b32_e32 v7, 0, v7, vcc
	v_add_u32_e32 v4, v7, v4
	v_add_u32_e32 v5, v4, v5
	;; [unrolled: 1-line block ×4, first 2 shown]
	ds_write2_b32 v6, v7, v4 offset0:4 offset1:5
	ds_write2_b32 v56, v5, v0 offset0:2 offset1:3
	ds_write_b32 v56, v1 offset:16
	s_waitcnt lgkmcnt(0)
	s_barrier
	ds_read_b32 v1, v14 offset:16
	ds_read_b32 v5, v20 offset:16
	;; [unrolled: 1-line block ×13, first 2 shown]
	v_add_u32_e32 v6, 1, v2
	v_cmp_ne_u32_e32 vcc, s0, v6
	v_mov_b32_e32 v0, 0xc00
	s_and_saveexec_b64 s[0:1], vcc
	s_cbranch_execz .LBB19_162
; %bb.161:
	v_mul_u32_u24_e32 v0, 5, v6
	v_lshlrev_b32_e32 v0, 2, v0
	ds_read_b32 v0, v0 offset:16
.LBB19_162:
	s_or_b64 exec, exec, s[0:1]
	s_waitcnt lgkmcnt(1)
	v_add_u32_e32 v30, v8, v9
	v_add3_u32 v28, v15, v13, v1
	v_lshlrev_b32_e32 v1, 1, v30
	v_add3_u32 v25, v22, v19, v5
	s_waitcnt lgkmcnt(0)
	s_barrier
	ds_write_b16 v1, v3 offset:2048
	v_lshlrev_b32_e32 v1, 1, v28
	v_add3_u32 v23, v27, v24, v7
	ds_write_b16 v1, v12 offset:2048
	v_lshlrev_b32_e32 v1, 1, v25
	v_add3_u32 v22, v32, v29, v14
	;; [unrolled: 3-line block ×9, first 2 shown]
	ds_write_b16 v1, v47 offset:2048
	v_lshlrev_b32_e32 v1, 1, v14
	ds_write_b16 v1, v50 offset:2048
	v_lshlrev_b32_e32 v1, 1, v13
	ds_write_b16 v1, v53 offset:2048
	v_sub_u32_e32 v32, v0, v4
	v_lshl_add_u32 v0, s6, 8, v2
	v_mov_b32_e32 v1, 0
	v_lshlrev_b64 v[6:7], 2, v[0:1]
	v_mov_b32_e32 v3, s73
	v_add_co_u32_e32 v6, vcc, s72, v6
	v_addc_co_u32_e32 v7, vcc, v3, v7, vcc
	v_or_b32_e32 v0, 2.0, v32
	s_mov_b64 s[0:1], 0
	s_brev_b32 s10, 1
	v_mov_b32_e32 v5, 0
	s_waitcnt lgkmcnt(0)
	s_barrier
	global_store_dword v[6:7], v0, off
                                        ; implicit-def: $sgpr2_sgpr3
	s_branch .LBB19_165
.LBB19_163:                             ;   in Loop: Header=BB19_165 Depth=1
	s_or_b64 exec, exec, s[4:5]
.LBB19_164:                             ;   in Loop: Header=BB19_165 Depth=1
	s_or_b64 exec, exec, s[2:3]
	v_and_b32_e32 v8, 0x3fffffff, v12
	v_add_u32_e32 v5, v8, v5
	v_cmp_eq_u32_e64 s[2:3], s10, v0
	s_and_b64 s[4:5], exec, s[2:3]
	s_or_b64 s[0:1], s[4:5], s[0:1]
	s_andn2_b64 exec, exec, s[0:1]
	s_cbranch_execz .LBB19_170
.LBB19_165:                             ; =>This Loop Header: Depth=1
                                        ;     Child Loop BB19_168 Depth 2
	s_or_b64 s[2:3], s[2:3], exec
	s_cmp_eq_u32 s7, 0
	s_cbranch_scc1 .LBB19_169
; %bb.166:                              ;   in Loop: Header=BB19_165 Depth=1
	s_add_i32 s7, s7, -1
	v_lshl_add_u32 v0, s7, 8, v2
	v_lshlrev_b64 v[8:9], 2, v[0:1]
	v_add_co_u32_e32 v8, vcc, s72, v8
	v_addc_co_u32_e32 v9, vcc, v3, v9, vcc
	global_load_dword v12, v[8:9], off glc
	s_waitcnt vmcnt(0)
	v_and_b32_e32 v0, -2.0, v12
	v_cmp_eq_u32_e32 vcc, 0, v0
	s_and_saveexec_b64 s[2:3], vcc
	s_cbranch_execz .LBB19_164
; %bb.167:                              ;   in Loop: Header=BB19_165 Depth=1
	s_mov_b64 s[4:5], 0
.LBB19_168:                             ;   Parent Loop BB19_165 Depth=1
                                        ; =>  This Inner Loop Header: Depth=2
	global_load_dword v12, v[8:9], off glc
	s_waitcnt vmcnt(0)
	v_and_b32_e32 v0, -2.0, v12
	v_cmp_ne_u32_e32 vcc, 0, v0
	s_or_b64 s[4:5], vcc, s[4:5]
	s_andn2_b64 exec, exec, s[4:5]
	s_cbranch_execnz .LBB19_168
	s_branch .LBB19_163
.LBB19_169:                             ;   in Loop: Header=BB19_165 Depth=1
                                        ; implicit-def: $sgpr7
	s_and_b64 s[4:5], exec, s[2:3]
	s_or_b64 s[0:1], s[4:5], s[0:1]
	s_andn2_b64 exec, exec, s[0:1]
	s_cbranch_execnz .LBB19_165
.LBB19_170:
	s_or_b64 exec, exec, s[0:1]
	v_add_u32_e32 v0, v5, v32
	v_or_b32_e32 v0, 0x80000000, v0
	global_store_dword v[6:7], v0, off
	v_lshlrev_b32_e32 v33, 3, v2
	global_load_dwordx2 v[0:1], v33, s[64:65]
	v_sub_co_u32_e32 v6, vcc, v5, v4
	v_subb_co_u32_e64 v7, s[0:1], 0, 0, vcc
	s_movk_i32 s0, 0x7fff
	v_mad_i32_i24 v9, v2, -6, v33
	v_mov_b32_e32 v12, 0xffff8000
	v_lshlrev_b32_e32 v16, 1, v2
	v_mov_b32_e32 v8, s59
	v_mov_b32_e32 v21, s59
	;; [unrolled: 1-line block ×3, first 2 shown]
	s_lshl_b64 s[2:3], s[54:55], 3
	s_add_u32 s1, s60, s2
	s_addc_u32 s2, s61, s3
	v_mov_b32_e32 v66, s59
	s_add_i32 s8, s8, -1
	v_mov_b32_e32 v3, 0
	s_cmp_eq_u32 s6, s8
	v_mov_b32_e32 v5, v3
	s_waitcnt vmcnt(0)
	v_add_co_u32_e32 v0, vcc, v6, v0
	v_addc_co_u32_e32 v1, vcc, v7, v1, vcc
	ds_write_b64 v33, v[0:1]
	s_waitcnt lgkmcnt(0)
	s_barrier
	ds_read_u16 v0, v9 offset:2048
	ds_read_u16 v1, v16 offset:2560
	;; [unrolled: 1-line block ×7, first 2 shown]
	s_waitcnt lgkmcnt(6)
	v_cmp_ne_u16_e32 vcc, s0, v0
	v_cndmask_b32_e32 v7, v12, v0, vcc
	v_cmp_lt_i16_e32 vcc, -1, v0
	v_cndmask_b32_e64 v9, v12, -1, vcc
	s_waitcnt lgkmcnt(5)
	v_cmp_ne_u16_e32 vcc, s0, v1
	v_cndmask_b32_e32 v26, v12, v1, vcc
	v_cmp_lt_i16_e32 vcc, -1, v1
	v_cndmask_b32_e64 v27, v12, -1, vcc
	;; [unrolled: 5-line block ×3, first 2 shown]
	v_lshrrev_b32_sdwa v7, s68, v7 dst_sel:DWORD dst_unused:UNUSED_PAD src0_sel:DWORD src1_sel:WORD_0
	v_xor_b32_e32 v9, v9, v0
	v_lshrrev_b32_sdwa v0, s68, v26 dst_sel:DWORD dst_unused:UNUSED_PAD src0_sel:DWORD src1_sel:WORD_0
	v_xor_b32_e32 v37, v27, v1
	;; [unrolled: 2-line block ×3, first 2 shown]
	v_and_b32_e32 v6, s9, v7
	v_and_b32_e32 v0, s9, v0
	;; [unrolled: 1-line block ×3, first 2 shown]
	v_lshlrev_b32_e32 v55, 3, v6
	v_lshlrev_b32_e32 v56, 3, v0
	;; [unrolled: 1-line block ×3, first 2 shown]
	ds_read_b64 v[0:1], v55
	ds_read_u16 v6, v16 offset:3072
	ds_read_u16 v36, v16 offset:4096
	;; [unrolled: 1-line block ×5, first 2 shown]
	s_waitcnt lgkmcnt(4)
	v_cmp_ne_u16_e32 vcc, s0, v6
	v_cndmask_b32_e32 v7, v12, v6, vcc
	v_cmp_lt_i16_e32 vcc, -1, v6
	v_lshlrev_b64 v[0:1], 1, v[0:1]
	v_cndmask_b32_e64 v26, v12, -1, vcc
	s_waitcnt lgkmcnt(3)
	v_cmp_ne_u16_e32 vcc, s0, v36
	v_cndmask_b32_e32 v27, v12, v36, vcc
	v_add_co_u32_e32 v0, vcc, s58, v0
	v_addc_co_u32_e32 v1, vcc, v8, v1, vcc
	v_add_co_u32_e32 v0, vcc, v0, v16
	v_addc_co_u32_e32 v1, vcc, 0, v1, vcc
	global_store_short v[0:1], v9, off
	ds_read_b64 v[0:1], v56
	v_lshrrev_b32_sdwa v7, s68, v7 dst_sel:DWORD dst_unused:UNUSED_PAD src0_sel:DWORD src1_sel:WORD_0
	v_xor_b32_e32 v40, v26, v6
	v_lshrrev_b32_sdwa v6, s68, v27 dst_sel:DWORD dst_unused:UNUSED_PAD src0_sel:DWORD src1_sel:WORD_0
	v_and_b32_e32 v7, s9, v7
	s_waitcnt lgkmcnt(0)
	v_lshlrev_b64 v[0:1], 1, v[0:1]
	v_and_b32_e32 v6, s9, v6
	v_lshlrev_b32_e32 v59, 3, v7
	v_add_co_u32_e32 v0, vcc, s58, v0
	v_lshlrev_b32_e32 v60, 3, v6
	ds_read_b64 v[6:7], v59
	ds_read_b64 v[8:9], v57
	;; [unrolled: 1-line block ×3, first 2 shown]
	v_addc_co_u32_e32 v1, vcc, v21, v1, vcc
	v_add_co_u32_e32 v0, vcc, v0, v16
	v_addc_co_u32_e32 v1, vcc, 0, v1, vcc
	global_store_short v[0:1], v37, off offset:512
	s_waitcnt lgkmcnt(2)
	v_lshlrev_b64 v[0:1], 1, v[6:7]
	v_add_co_u32_e32 v0, vcc, s58, v0
	v_addc_co_u32_e32 v1, vcc, v24, v1, vcc
	v_add_co_u32_e32 v0, vcc, v0, v16
	s_waitcnt lgkmcnt(1)
	v_lshlrev_b64 v[6:7], 1, v[8:9]
	v_addc_co_u32_e32 v1, vcc, 0, v1, vcc
	global_store_short v[0:1], v40, off offset:1024
	v_mov_b32_e32 v0, s59
	v_add_co_u32_e32 v1, vcc, s58, v6
	v_addc_co_u32_e32 v6, vcc, v0, v7, vcc
	v_add_co_u32_e32 v0, vcc, v1, v16
	v_addc_co_u32_e32 v1, vcc, 0, v6, vcc
	v_cmp_lt_i16_e32 vcc, -1, v36
	global_store_short v[0:1], v35, off offset:1536
	v_cndmask_b32_e64 v0, v12, -1, vcc
	v_xor_b32_e32 v6, v0, v36
	s_waitcnt lgkmcnt(0)
	v_lshlrev_b64 v[0:1], 1, v[26:27]
	v_mov_b32_e32 v7, s59
	v_add_co_u32_e32 v0, vcc, s58, v0
	v_addc_co_u32_e32 v1, vcc, v7, v1, vcc
	v_add_co_u32_e32 v0, vcc, v0, v16
	v_addc_co_u32_e32 v1, vcc, 0, v1, vcc
	v_cmp_ne_u16_e32 vcc, s0, v29
	global_store_short v[0:1], v6, off offset:2048
	v_cndmask_b32_e32 v0, v12, v29, vcc
	v_lshrrev_b32_sdwa v0, s68, v0 dst_sel:DWORD dst_unused:UNUSED_PAD src0_sel:DWORD src1_sel:WORD_0
	v_cmp_lt_i16_e32 vcc, -1, v29
	v_and_b32_e32 v0, s9, v0
	v_cndmask_b32_e64 v1, v12, -1, vcc
	v_cmp_ne_u16_e32 vcc, s0, v38
	v_lshlrev_b32_e32 v24, 3, v0
	v_cndmask_b32_e32 v0, v12, v38, vcc
	v_lshrrev_b32_sdwa v0, s68, v0 dst_sel:DWORD dst_unused:UNUSED_PAD src0_sel:DWORD src1_sel:WORD_0
	v_and_b32_e32 v0, s9, v0
	v_cmp_ne_u16_e32 vcc, s0, v31
	v_xor_b32_e32 v21, v1, v29
	v_lshlrev_b32_e32 v29, 3, v0
	v_cndmask_b32_e32 v0, v12, v31, vcc
	v_lshrrev_b32_sdwa v0, s68, v0 dst_sel:DWORD dst_unused:UNUSED_PAD src0_sel:DWORD src1_sel:WORD_0
	v_and_b32_e32 v0, s9, v0
	v_cmp_ne_u16_e32 vcc, s0, v39
	v_lshlrev_b32_e32 v61, 3, v0
	v_cndmask_b32_e32 v0, v12, v39, vcc
	v_lshrrev_b32_sdwa v0, s68, v0 dst_sel:DWORD dst_unused:UNUSED_PAD src0_sel:DWORD src1_sel:WORD_0
	v_and_b32_e32 v6, s9, v0
	ds_read_b64 v[0:1], v24
	v_mov_b32_e32 v35, s59
	v_lshlrev_b32_e32 v62, 3, v6
	ds_read_b64 v[6:7], v29
	ds_read_b64 v[8:9], v61
	;; [unrolled: 1-line block ×3, first 2 shown]
	s_waitcnt lgkmcnt(3)
	v_lshlrev_b64 v[0:1], 1, v[0:1]
	v_add_co_u32_e32 v0, vcc, s58, v0
	v_addc_co_u32_e32 v1, vcc, v35, v1, vcc
	v_add_co_u32_e32 v0, vcc, v0, v16
	v_addc_co_u32_e32 v1, vcc, 0, v1, vcc
	v_cmp_lt_i16_e32 vcc, -1, v38
	global_store_short v[0:1], v21, off offset:2560
	v_cndmask_b32_e64 v0, v12, -1, vcc
	v_xor_b32_e32 v21, v0, v38
	s_waitcnt lgkmcnt(2)
	v_lshlrev_b64 v[0:1], 1, v[6:7]
	v_mov_b32_e32 v6, s59
	v_add_co_u32_e32 v0, vcc, s58, v0
	v_addc_co_u32_e32 v1, vcc, v6, v1, vcc
	v_add_co_u32_e32 v0, vcc, v0, v16
	v_addc_co_u32_e32 v1, vcc, 0, v1, vcc
	v_cmp_lt_i16_e32 vcc, -1, v31
	global_store_short v[0:1], v21, off offset:3072
	v_cndmask_b32_e64 v0, v12, -1, vcc
	v_xor_b32_e32 v6, v0, v31
	s_waitcnt lgkmcnt(1)
	v_lshlrev_b64 v[0:1], 1, v[8:9]
	v_mov_b32_e32 v7, s59
	v_add_co_u32_e32 v0, vcc, s58, v0
	v_addc_co_u32_e32 v1, vcc, v7, v1, vcc
	v_add_co_u32_e32 v0, vcc, v0, v16
	v_addc_co_u32_e32 v1, vcc, 0, v1, vcc
	v_cmp_lt_i16_e32 vcc, -1, v39
	global_store_short v[0:1], v6, off offset:3584
	v_cndmask_b32_e64 v0, v12, -1, vcc
	v_xor_b32_e32 v6, v0, v39
	s_waitcnt lgkmcnt(0)
	v_lshlrev_b64 v[0:1], 1, v[26:27]
	v_or_b32_e32 v16, 0x800, v2
	v_add_co_u32_e32 v0, vcc, s58, v0
	v_addc_co_u32_e32 v1, vcc, v7, v1, vcc
	v_lshlrev_b32_e32 v7, 1, v16
	v_add_co_u32_e32 v0, vcc, v0, v7
	v_addc_co_u32_e32 v1, vcc, 0, v1, vcc
	v_cmp_ne_u16_e32 vcc, s0, v34
	global_store_short v[0:1], v6, off
	v_cndmask_b32_e32 v0, v12, v34, vcc
	v_lshrrev_b32_sdwa v0, s68, v0 dst_sel:DWORD dst_unused:UNUSED_PAD src0_sel:DWORD src1_sel:WORD_0
	v_and_b32_e32 v26, s9, v0
	v_cmp_lt_i16_e32 vcc, -1, v34
	v_lshlrev_b32_e32 v0, 3, v11
	v_cndmask_b32_e64 v8, v12, -1, vcc
	v_mov_b32_e32 v1, s2
	v_add_co_u32_e32 v0, vcc, s1, v0
	v_addc_co_u32_e32 v1, vcc, 0, v1, vcc
	v_lshlrev_b32_e32 v6, 3, v10
	v_add_co_u32_e32 v0, vcc, v0, v6
	v_addc_co_u32_e32 v1, vcc, 0, v1, vcc
	global_load_dwordx2 v[6:7], v[0:1], off
	v_xor_b32_e32 v31, v8, v34
	global_load_dwordx2 v[8:9], v[0:1], off offset:512
	s_movk_i32 s1, 0x1000
	v_lshlrev_b32_e32 v63, 3, v26
	global_load_dwordx2 v[10:11], v[0:1], off offset:1024
	global_load_dwordx2 v[26:27], v[0:1], off offset:1536
	;; [unrolled: 1-line block ×6, first 2 shown]
	v_add_co_u32_e32 v0, vcc, s1, v0
	v_addc_co_u32_e32 v1, vcc, 0, v1, vcc
	global_load_dwordx2 v[42:43], v[0:1], off
	global_load_dwordx2 v[44:45], v[0:1], off offset:512
	v_cmp_ne_u16_e32 vcc, s0, v58
	v_cndmask_b32_e32 v46, v12, v58, vcc
	v_lshrrev_b32_sdwa v48, s68, v46 dst_sel:DWORD dst_unused:UNUSED_PAD src0_sel:DWORD src1_sel:WORD_0
	global_load_dwordx2 v[46:47], v[0:1], off offset:1024
	v_and_b32_e32 v48, s9, v48
	global_load_dwordx2 v[0:1], v[0:1], off offset:1536
	v_cmp_ne_u16_e32 vcc, s0, v54
	v_lshlrev_b32_e32 v64, 3, v48
	v_cndmask_b32_e32 v48, v12, v54, vcc
	v_lshrrev_b32_sdwa v50, s68, v48 dst_sel:DWORD dst_unused:UNUSED_PAD src0_sel:DWORD src1_sel:WORD_0
	ds_read_b64 v[48:49], v63
	v_add_u32_e32 v21, 0x900, v2
	v_and_b32_e32 v50, s9, v50
	v_lshlrev_b32_e32 v65, 3, v50
	ds_read_b64 v[50:51], v64
	ds_read_b64 v[52:53], v65
	s_waitcnt lgkmcnt(2)
	v_lshlrev_b64 v[48:49], 1, v[48:49]
	v_add_co_u32_e32 v48, vcc, s58, v48
	v_addc_co_u32_e32 v49, vcc, v66, v49, vcc
	v_lshlrev_b32_e32 v66, 1, v21
	v_add_co_u32_e32 v48, vcc, v48, v66
	v_addc_co_u32_e32 v49, vcc, 0, v49, vcc
	v_cmp_lt_i16_e32 vcc, -1, v58
	global_store_short v[48:49], v31, off
	v_cndmask_b32_e64 v48, v12, -1, vcc
	v_xor_b32_e32 v58, v48, v58
	s_waitcnt lgkmcnt(1)
	v_lshlrev_b64 v[48:49], 1, v[50:51]
	v_add_u32_e32 v31, 0xa00, v2
	v_mov_b32_e32 v50, s59
	v_add_co_u32_e32 v48, vcc, s58, v48
	v_addc_co_u32_e32 v49, vcc, v50, v49, vcc
	v_lshlrev_b32_e32 v50, 1, v31
	v_add_co_u32_e32 v48, vcc, v48, v50
	v_addc_co_u32_e32 v49, vcc, 0, v49, vcc
	global_store_short v[48:49], v58, off
	v_cmp_lt_i16_e32 vcc, -1, v54
	s_waitcnt lgkmcnt(0)
	v_lshlrev_b64 v[48:49], 1, v[52:53]
	v_add_u32_e32 v50, 0xb00, v2
	v_cndmask_b32_e64 v12, v12, -1, vcc
	v_mov_b32_e32 v51, s59
	v_add_co_u32_e32 v48, vcc, s58, v48
	v_addc_co_u32_e32 v49, vcc, v51, v49, vcc
	v_lshlrev_b32_e32 v51, 1, v50
	v_add_co_u32_e32 v48, vcc, v48, v51
	v_xor_b32_e32 v12, v12, v54
	v_addc_co_u32_e32 v49, vcc, 0, v49, vcc
	global_store_short v[48:49], v12, off
	v_lshlrev_b32_e32 v12, 3, v30
	s_barrier
	v_lshlrev_b32_e32 v16, 3, v16
	s_cselect_b64 s[0:1], -1, 0
	s_waitcnt vmcnt(14)
	ds_write_b64 v12, v[6:7] offset:2048
	v_lshlrev_b32_e32 v6, 3, v28
	s_waitcnt vmcnt(13)
	ds_write_b64 v6, v[8:9] offset:2048
	v_lshlrev_b32_e32 v6, 3, v25
	;; [unrolled: 3-line block ×11, first 2 shown]
	s_waitcnt vmcnt(3)
	ds_write_b64 v6, v[0:1] offset:2048
	s_waitcnt lgkmcnt(0)
	s_barrier
	ds_read_b64 v[0:1], v55
	ds_read2st64_b64 v[6:9], v33 offset0:4 offset1:8
	ds_read_b64 v[10:11], v56
	ds_read_b64 v[12:13], v59
	;; [unrolled: 1-line block ×3, first 2 shown]
	s_waitcnt lgkmcnt(4)
	v_lshlrev_b64 v[0:1], 3, v[0:1]
	v_mov_b32_e32 v17, s63
	v_add_co_u32_e32 v0, vcc, s62, v0
	v_addc_co_u32_e32 v1, vcc, v17, v1, vcc
	v_add_co_u32_e32 v0, vcc, v0, v33
	v_addc_co_u32_e32 v1, vcc, 0, v1, vcc
	s_waitcnt lgkmcnt(3)
	global_store_dwordx2 v[0:1], v[6:7], off
	s_waitcnt lgkmcnt(2)
	v_lshlrev_b64 v[0:1], 3, v[10:11]
	v_mov_b32_e32 v6, s63
	v_add_co_u32_e32 v0, vcc, s62, v0
	v_addc_co_u32_e32 v1, vcc, v6, v1, vcc
	v_add_co_u32_e32 v0, vcc, v0, v33
	v_addc_co_u32_e32 v1, vcc, 0, v1, vcc
	global_store_dwordx2 v[0:1], v[8:9], off offset:2048
	ds_read2st64_b64 v[6:9], v33 offset0:12 offset1:16
	s_waitcnt lgkmcnt(2)
	v_lshlrev_b64 v[0:1], 3, v[12:13]
	v_mov_b32_e32 v10, s63
	v_add_co_u32_e32 v0, vcc, s62, v0
	v_addc_co_u32_e32 v1, vcc, v10, v1, vcc
	v_add_u32_e32 v10, 0x1000, v33
	v_add_co_u32_e32 v0, vcc, v0, v10
	v_addc_co_u32_e32 v1, vcc, 0, v1, vcc
	s_waitcnt lgkmcnt(0)
	global_store_dwordx2 v[0:1], v[6:7], off
	v_lshlrev_b64 v[0:1], 3, v[14:15]
	v_mov_b32_e32 v6, s63
	v_add_co_u32_e32 v0, vcc, s62, v0
	v_addc_co_u32_e32 v1, vcc, v6, v1, vcc
	v_add_u32_e32 v6, 0x1800, v33
	v_add_co_u32_e32 v0, vcc, v0, v6
	v_addc_co_u32_e32 v1, vcc, 0, v1, vcc
	global_store_dwordx2 v[0:1], v[8:9], off
	ds_read_b64 v[0:1], v60
	ds_read2st64_b64 v[6:9], v33 offset0:20 offset1:24
	ds_read_b64 v[10:11], v24
	ds_read_b64 v[12:13], v29
	ds_read_b64 v[14:15], v61
	s_waitcnt lgkmcnt(4)
	v_lshlrev_b64 v[0:1], 3, v[0:1]
	v_add_co_u32_e32 v0, vcc, s62, v0
	v_addc_co_u32_e32 v1, vcc, v17, v1, vcc
	v_or_b32_e32 v17, 0x2000, v33
	v_add_co_u32_e32 v0, vcc, v0, v17
	v_addc_co_u32_e32 v1, vcc, 0, v1, vcc
	s_waitcnt lgkmcnt(3)
	global_store_dwordx2 v[0:1], v[6:7], off
	s_waitcnt lgkmcnt(2)
	v_lshlrev_b64 v[0:1], 3, v[10:11]
	v_mov_b32_e32 v6, s63
	v_add_co_u32_e32 v0, vcc, s62, v0
	v_addc_co_u32_e32 v1, vcc, v6, v1, vcc
	v_add_u32_e32 v6, 0x2800, v33
	v_add_co_u32_e32 v0, vcc, v0, v6
	v_addc_co_u32_e32 v1, vcc, 0, v1, vcc
	global_store_dwordx2 v[0:1], v[8:9], off
	ds_read2st64_b64 v[6:9], v33 offset0:28 offset1:32
	s_waitcnt lgkmcnt(2)
	v_lshlrev_b64 v[0:1], 3, v[12:13]
	v_mov_b32_e32 v10, s63
	v_add_co_u32_e32 v0, vcc, s62, v0
	v_addc_co_u32_e32 v1, vcc, v10, v1, vcc
	v_add_u32_e32 v10, 0x3000, v33
	v_add_co_u32_e32 v0, vcc, v0, v10
	v_addc_co_u32_e32 v1, vcc, 0, v1, vcc
	s_waitcnt lgkmcnt(0)
	global_store_dwordx2 v[0:1], v[6:7], off
	v_lshlrev_b64 v[0:1], 3, v[14:15]
	v_mov_b32_e32 v6, s63
	v_add_co_u32_e32 v0, vcc, s62, v0
	v_addc_co_u32_e32 v1, vcc, v6, v1, vcc
	v_add_u32_e32 v6, 0x3800, v33
	v_add_co_u32_e32 v0, vcc, v0, v6
	v_addc_co_u32_e32 v1, vcc, 0, v1, vcc
	global_store_dwordx2 v[0:1], v[8:9], off
	ds_read_b64 v[0:1], v62
	ds_read2st64_b64 v[6:9], v33 offset0:36 offset1:40
	ds_read_b64 v[10:11], v63
	ds_read_b64 v[12:13], v64
	;; [unrolled: 1-line block ×3, first 2 shown]
	s_waitcnt lgkmcnt(4)
	v_lshlrev_b64 v[0:1], 3, v[0:1]
	v_mov_b32_e32 v17, s63
	v_add_co_u32_e32 v0, vcc, s62, v0
	v_addc_co_u32_e32 v1, vcc, v17, v1, vcc
	v_add_co_u32_e32 v0, vcc, v0, v16
	v_addc_co_u32_e32 v1, vcc, 0, v1, vcc
	s_waitcnt lgkmcnt(3)
	global_store_dwordx2 v[0:1], v[6:7], off
	s_waitcnt lgkmcnt(2)
	v_lshlrev_b64 v[0:1], 3, v[10:11]
	v_mov_b32_e32 v6, s63
	v_add_co_u32_e32 v0, vcc, s62, v0
	v_addc_co_u32_e32 v1, vcc, v6, v1, vcc
	v_lshlrev_b32_e32 v6, 3, v21
	v_add_co_u32_e32 v0, vcc, v0, v6
	v_addc_co_u32_e32 v1, vcc, 0, v1, vcc
	global_store_dwordx2 v[0:1], v[8:9], off
	ds_read2st64_b64 v[6:9], v33 offset0:44 offset1:48
	s_waitcnt lgkmcnt(2)
	v_lshlrev_b64 v[0:1], 3, v[12:13]
	v_mov_b32_e32 v10, s63
	v_add_co_u32_e32 v0, vcc, s62, v0
	v_addc_co_u32_e32 v1, vcc, v10, v1, vcc
	v_lshlrev_b32_e32 v10, 3, v31
	v_add_co_u32_e32 v0, vcc, v0, v10
	v_addc_co_u32_e32 v1, vcc, 0, v1, vcc
	s_waitcnt lgkmcnt(0)
	global_store_dwordx2 v[0:1], v[6:7], off
	v_lshlrev_b64 v[0:1], 3, v[14:15]
	v_mov_b32_e32 v6, s63
	v_add_co_u32_e32 v0, vcc, s62, v0
	v_addc_co_u32_e32 v1, vcc, v6, v1, vcc
	v_lshlrev_b32_e32 v6, 3, v50
	v_add_co_u32_e32 v0, vcc, v0, v6
	v_addc_co_u32_e32 v1, vcc, 0, v1, vcc
	global_store_dwordx2 v[0:1], v[8:9], off
.LBB19_171:
	s_and_b64 vcc, exec, s[0:1]
	s_cbranch_vccnz .LBB19_173
; %bb.172:
	s_endpgm
.LBB19_173:
	v_lshlrev_b64 v[0:1], 3, v[2:3]
	ds_read_b64 v[2:3], v33
	v_add_co_u32_e32 v4, vcc, v4, v32
	v_addc_co_u32_e32 v5, vcc, 0, v5, vcc
	v_mov_b32_e32 v6, s67
	v_add_co_u32_e32 v0, vcc, s66, v0
	v_addc_co_u32_e32 v1, vcc, v6, v1, vcc
	s_waitcnt lgkmcnt(0)
	v_add_co_u32_e32 v2, vcc, v4, v2
	v_addc_co_u32_e32 v3, vcc, v5, v3, vcc
	global_store_dwordx2 v[0:1], v[2:3], off
	s_endpgm
.LBB19_174:
	global_load_dwordx2 v[6:7], v[30:31], off
	s_or_b64 exec, exec, s[52:53]
                                        ; implicit-def: $vgpr8_vgpr9
	s_and_saveexec_b64 s[52:53], s[0:1]
	s_cbranch_execz .LBB19_91
.LBB19_175:
	global_load_dwordx2 v[8:9], v[30:31], off offset:512
	s_or_b64 exec, exec, s[52:53]
                                        ; implicit-def: $vgpr10_vgpr11
	s_and_saveexec_b64 s[0:1], s[2:3]
	s_cbranch_execz .LBB19_92
.LBB19_176:
	global_load_dwordx2 v[10:11], v[30:31], off offset:1024
	s_or_b64 exec, exec, s[0:1]
                                        ; implicit-def: $vgpr12_vgpr13
	s_and_saveexec_b64 s[0:1], s[50:51]
	s_cbranch_execz .LBB19_93
.LBB19_177:
	global_load_dwordx2 v[12:13], v[30:31], off offset:1536
	s_or_b64 exec, exec, s[0:1]
                                        ; implicit-def: $vgpr14_vgpr15
	s_and_saveexec_b64 s[0:1], s[8:9]
	s_cbranch_execz .LBB19_94
.LBB19_178:
	global_load_dwordx2 v[14:15], v[30:31], off offset:2048
	s_or_b64 exec, exec, s[0:1]
                                        ; implicit-def: $vgpr16_vgpr17
	s_and_saveexec_b64 s[0:1], s[12:13]
	s_cbranch_execz .LBB19_95
.LBB19_179:
	global_load_dwordx2 v[16:17], v[30:31], off offset:2560
	s_or_b64 exec, exec, s[0:1]
                                        ; implicit-def: $vgpr18_vgpr19
	s_and_saveexec_b64 s[0:1], s[16:17]
	s_cbranch_execz .LBB19_96
.LBB19_180:
	global_load_dwordx2 v[18:19], v[30:31], off offset:3072
	s_or_b64 exec, exec, s[0:1]
                                        ; implicit-def: $vgpr20_vgpr21
	s_and_saveexec_b64 s[0:1], s[20:21]
	s_cbranch_execz .LBB19_97
.LBB19_181:
	global_load_dwordx2 v[20:21], v[30:31], off offset:3584
	s_or_b64 exec, exec, s[0:1]
                                        ; implicit-def: $vgpr22_vgpr23
	s_and_saveexec_b64 s[0:1], s[22:23]
	s_cbranch_execz .LBB19_98
.LBB19_182:
	v_add_co_u32_e32 v22, vcc, 0x1000, v30
	v_addc_co_u32_e32 v23, vcc, 0, v31, vcc
	global_load_dwordx2 v[22:23], v[22:23], off
	s_or_b64 exec, exec, s[0:1]
                                        ; implicit-def: $vgpr24_vgpr25
	s_and_saveexec_b64 s[0:1], s[18:19]
	s_cbranch_execz .LBB19_99
.LBB19_183:
	v_add_co_u32_e32 v24, vcc, 0x1000, v30
	v_addc_co_u32_e32 v25, vcc, 0, v31, vcc
	global_load_dwordx2 v[24:25], v[24:25], off offset:512
	s_or_b64 exec, exec, s[0:1]
                                        ; implicit-def: $vgpr26_vgpr27
	s_and_saveexec_b64 s[0:1], s[14:15]
	s_cbranch_execz .LBB19_100
.LBB19_184:
	v_add_co_u32_e32 v26, vcc, 0x1000, v30
	v_addc_co_u32_e32 v27, vcc, 0, v31, vcc
	global_load_dwordx2 v[26:27], v[26:27], off offset:1024
	s_or_b64 exec, exec, s[0:1]
                                        ; implicit-def: $vgpr28_vgpr29
	s_and_saveexec_b64 s[0:1], s[10:11]
	s_cbranch_execz .LBB19_101
.LBB19_185:
	v_add_co_u32_e32 v28, vcc, 0x1000, v30
	v_addc_co_u32_e32 v29, vcc, 0, v31, vcc
	global_load_dwordx2 v[28:29], v[28:29], off offset:1536
	s_or_b64 exec, exec, s[0:1]
                                        ; implicit-def: $vgpr65
	s_and_saveexec_b64 s[0:1], s[24:25]
	s_cbranch_execz .LBB19_102
.LBB19_186:
	v_lshlrev_b32_e32 v30, 1, v2
	ds_read_u16 v30, v30 offset:2048
	s_movk_i32 s2, 0x7fff
	v_mov_b32_e32 v31, 0xffff8000
	s_waitcnt lgkmcnt(0)
	v_cmp_ne_u16_e32 vcc, s2, v30
	v_cndmask_b32_e32 v30, v31, v30, vcc
	v_lshrrev_b32_sdwa v30, s68, v30 dst_sel:DWORD dst_unused:UNUSED_PAD src0_sel:DWORD src1_sel:WORD_0
	v_and_b32_e32 v65, s74, v30
	s_or_b64 exec, exec, s[0:1]
                                        ; implicit-def: $vgpr64
	s_and_saveexec_b64 s[0:1], s[26:27]
	s_cbranch_execz .LBB19_103
.LBB19_187:
	v_lshlrev_b32_e32 v30, 1, v2
	ds_read_u16 v30, v30 offset:2560
	s_movk_i32 s2, 0x7fff
	v_mov_b32_e32 v31, 0xffff8000
	s_waitcnt lgkmcnt(0)
	v_cmp_ne_u16_e32 vcc, s2, v30
	v_cndmask_b32_e32 v30, v31, v30, vcc
	v_lshrrev_b32_sdwa v30, s68, v30 dst_sel:DWORD dst_unused:UNUSED_PAD src0_sel:DWORD src1_sel:WORD_0
	v_and_b32_e32 v64, s74, v30
	s_or_b64 exec, exec, s[0:1]
                                        ; implicit-def: $vgpr63
	s_and_saveexec_b64 s[0:1], s[28:29]
	s_cbranch_execz .LBB19_104
.LBB19_188:
	v_lshlrev_b32_e32 v30, 1, v2
	ds_read_u16 v30, v30 offset:3072
	s_movk_i32 s2, 0x7fff
	v_mov_b32_e32 v31, 0xffff8000
	s_waitcnt lgkmcnt(0)
	v_cmp_ne_u16_e32 vcc, s2, v30
	v_cndmask_b32_e32 v30, v31, v30, vcc
	v_lshrrev_b32_sdwa v30, s68, v30 dst_sel:DWORD dst_unused:UNUSED_PAD src0_sel:DWORD src1_sel:WORD_0
	v_and_b32_e32 v63, s74, v30
	s_or_b64 exec, exec, s[0:1]
                                        ; implicit-def: $vgpr62
	s_and_saveexec_b64 s[0:1], s[30:31]
	s_cbranch_execz .LBB19_105
.LBB19_189:
	v_lshlrev_b32_e32 v30, 1, v2
	ds_read_u16 v30, v30 offset:3584
	s_movk_i32 s2, 0x7fff
	v_mov_b32_e32 v31, 0xffff8000
	s_waitcnt lgkmcnt(0)
	v_cmp_ne_u16_e32 vcc, s2, v30
	v_cndmask_b32_e32 v30, v31, v30, vcc
	v_lshrrev_b32_sdwa v30, s68, v30 dst_sel:DWORD dst_unused:UNUSED_PAD src0_sel:DWORD src1_sel:WORD_0
	v_and_b32_e32 v62, s74, v30
	s_or_b64 exec, exec, s[0:1]
                                        ; implicit-def: $vgpr61
	s_and_saveexec_b64 s[0:1], s[34:35]
	s_cbranch_execz .LBB19_106
.LBB19_190:
	v_lshlrev_b32_e32 v30, 1, v2
	ds_read_u16 v30, v30 offset:4096
	s_movk_i32 s2, 0x7fff
	v_mov_b32_e32 v31, 0xffff8000
	s_waitcnt lgkmcnt(0)
	v_cmp_ne_u16_e32 vcc, s2, v30
	v_cndmask_b32_e32 v30, v31, v30, vcc
	v_lshrrev_b32_sdwa v30, s68, v30 dst_sel:DWORD dst_unused:UNUSED_PAD src0_sel:DWORD src1_sel:WORD_0
	v_and_b32_e32 v61, s74, v30
	s_or_b64 exec, exec, s[0:1]
                                        ; implicit-def: $vgpr60
	s_and_saveexec_b64 s[0:1], s[36:37]
	s_cbranch_execz .LBB19_107
.LBB19_191:
	v_lshlrev_b32_e32 v30, 1, v2
	ds_read_u16 v30, v30 offset:4608
	s_movk_i32 s2, 0x7fff
	v_mov_b32_e32 v31, 0xffff8000
	s_waitcnt lgkmcnt(0)
	v_cmp_ne_u16_e32 vcc, s2, v30
	v_cndmask_b32_e32 v30, v31, v30, vcc
	v_lshrrev_b32_sdwa v30, s68, v30 dst_sel:DWORD dst_unused:UNUSED_PAD src0_sel:DWORD src1_sel:WORD_0
	v_and_b32_e32 v60, s74, v30
	s_or_b64 exec, exec, s[0:1]
                                        ; implicit-def: $vgpr59
	s_and_saveexec_b64 s[0:1], s[38:39]
	s_cbranch_execz .LBB19_108
.LBB19_192:
	v_lshlrev_b32_e32 v30, 1, v2
	ds_read_u16 v30, v30 offset:5120
	s_movk_i32 s2, 0x7fff
	v_mov_b32_e32 v31, 0xffff8000
	s_waitcnt lgkmcnt(0)
	v_cmp_ne_u16_e32 vcc, s2, v30
	v_cndmask_b32_e32 v30, v31, v30, vcc
	v_lshrrev_b32_sdwa v30, s68, v30 dst_sel:DWORD dst_unused:UNUSED_PAD src0_sel:DWORD src1_sel:WORD_0
	v_and_b32_e32 v59, s74, v30
	s_or_b64 exec, exec, s[0:1]
                                        ; implicit-def: $vgpr58
	s_and_saveexec_b64 s[0:1], s[40:41]
	s_cbranch_execz .LBB19_109
.LBB19_193:
	v_lshlrev_b32_e32 v30, 1, v2
	ds_read_u16 v30, v30 offset:5632
	s_movk_i32 s2, 0x7fff
	v_mov_b32_e32 v31, 0xffff8000
	s_waitcnt lgkmcnt(0)
	v_cmp_ne_u16_e32 vcc, s2, v30
	v_cndmask_b32_e32 v30, v31, v30, vcc
	v_lshrrev_b32_sdwa v30, s68, v30 dst_sel:DWORD dst_unused:UNUSED_PAD src0_sel:DWORD src1_sel:WORD_0
	v_and_b32_e32 v58, s74, v30
	s_or_b64 exec, exec, s[0:1]
                                        ; implicit-def: $vgpr57
	s_and_saveexec_b64 s[0:1], s[42:43]
	s_cbranch_execnz .LBB19_110
	s_branch .LBB19_111
.LBB19_194:
	v_lshlrev_b32_e32 v31, 1, v2
	ds_read_u16 v31, v31 offset:6656
	s_movk_i32 s2, 0x7fff
	v_mov_b32_e32 v56, 0xffff8000
	s_waitcnt lgkmcnt(0)
	v_cmp_ne_u16_e32 vcc, s2, v31
	v_cndmask_b32_e32 v31, v56, v31, vcc
	v_lshrrev_b32_sdwa v31, s68, v31 dst_sel:DWORD dst_unused:UNUSED_PAD src0_sel:DWORD src1_sel:WORD_0
	v_and_b32_e32 v56, s74, v31
	s_or_b64 exec, exec, s[0:1]
	s_and_saveexec_b64 s[0:1], s[46:47]
	s_cbranch_execz .LBB19_113
.LBB19_195:
	v_lshlrev_b32_e32 v30, 1, v2
	ds_read_u16 v30, v30 offset:7168
	s_movk_i32 s2, 0x7fff
	v_mov_b32_e32 v31, 0xffff8000
	s_waitcnt lgkmcnt(0)
	v_cmp_ne_u16_e32 vcc, s2, v30
	v_cndmask_b32_e32 v30, v31, v30, vcc
	v_lshrrev_b32_sdwa v30, s68, v30 dst_sel:DWORD dst_unused:UNUSED_PAD src0_sel:DWORD src1_sel:WORD_0
	v_and_b32_e32 v30, s74, v30
	s_or_b64 exec, exec, s[0:1]
	v_mov_b32_e32 v31, 0
	s_and_saveexec_b64 s[0:1], s[48:49]
	s_cbranch_execnz .LBB19_114
	s_branch .LBB19_115
.LBB19_196:
	v_lshlrev_b32_e32 v6, 3, v65
	ds_read_b64 v[6:7], v6
	ds_read_b64 v[8:9], v33 offset:2048
	v_mov_b32_e32 v10, s63
	s_waitcnt lgkmcnt(1)
	v_lshlrev_b64 v[6:7], 3, v[6:7]
	v_add_co_u32_e32 v6, vcc, s62, v6
	v_addc_co_u32_e32 v7, vcc, v10, v7, vcc
	v_add_co_u32_e32 v6, vcc, v6, v33
	v_addc_co_u32_e32 v7, vcc, 0, v7, vcc
	s_waitcnt lgkmcnt(0)
	global_store_dwordx2 v[6:7], v[8:9], off
	s_or_b64 exec, exec, s[0:1]
	s_and_saveexec_b64 s[0:1], s[26:27]
	s_cbranch_execz .LBB19_117
.LBB19_197:
	v_lshlrev_b32_e32 v6, 3, v64
	ds_read_b64 v[6:7], v6
	v_lshlrev_b32_e32 v10, 3, v2
	ds_read_b64 v[8:9], v10 offset:4096
	v_mov_b32_e32 v11, s63
	s_waitcnt lgkmcnt(1)
	v_lshlrev_b64 v[6:7], 3, v[6:7]
	v_add_co_u32_e32 v6, vcc, s62, v6
	v_addc_co_u32_e32 v7, vcc, v11, v7, vcc
	v_add_co_u32_e32 v6, vcc, v6, v10
	v_addc_co_u32_e32 v7, vcc, 0, v7, vcc
	s_waitcnt lgkmcnt(0)
	global_store_dwordx2 v[6:7], v[8:9], off offset:2048
	s_or_b64 exec, exec, s[0:1]
	s_and_saveexec_b64 s[0:1], s[28:29]
	s_cbranch_execz .LBB19_118
.LBB19_198:
	v_lshlrev_b32_e32 v6, 3, v63
	ds_read_b64 v[6:7], v6
	v_lshlrev_b32_e32 v8, 3, v2
	ds_read_b64 v[8:9], v8 offset:6144
	v_mov_b32_e32 v10, s63
	s_waitcnt lgkmcnt(1)
	v_lshlrev_b64 v[6:7], 3, v[6:7]
	v_add_co_u32_e32 v6, vcc, s62, v6
	v_addc_co_u32_e32 v7, vcc, v10, v7, vcc
	v_lshlrev_b32_e32 v10, 3, v46
	v_add_co_u32_e32 v6, vcc, v6, v10
	v_addc_co_u32_e32 v7, vcc, 0, v7, vcc
	s_waitcnt lgkmcnt(0)
	global_store_dwordx2 v[6:7], v[8:9], off
	s_or_b64 exec, exec, s[0:1]
	s_and_saveexec_b64 s[0:1], s[30:31]
	s_cbranch_execz .LBB19_119
.LBB19_199:
	v_lshlrev_b32_e32 v6, 3, v62
	ds_read_b64 v[6:7], v6
	v_lshlrev_b32_e32 v8, 3, v2
	ds_read_b64 v[8:9], v8 offset:8192
	v_mov_b32_e32 v10, s63
	s_waitcnt lgkmcnt(1)
	v_lshlrev_b64 v[6:7], 3, v[6:7]
	v_add_co_u32_e32 v6, vcc, s62, v6
	v_addc_co_u32_e32 v7, vcc, v10, v7, vcc
	v_lshlrev_b32_e32 v10, 3, v47
	v_add_co_u32_e32 v6, vcc, v6, v10
	v_addc_co_u32_e32 v7, vcc, 0, v7, vcc
	s_waitcnt lgkmcnt(0)
	global_store_dwordx2 v[6:7], v[8:9], off
	s_or_b64 exec, exec, s[0:1]
	s_and_saveexec_b64 s[0:1], s[34:35]
	s_cbranch_execz .LBB19_120
.LBB19_200:
	v_lshlrev_b32_e32 v6, 3, v61
	ds_read_b64 v[6:7], v6
	v_lshlrev_b32_e32 v8, 3, v2
	ds_read_b64 v[8:9], v8 offset:10240
	v_mov_b32_e32 v10, s63
	s_waitcnt lgkmcnt(1)
	v_lshlrev_b64 v[6:7], 3, v[6:7]
	v_add_co_u32_e32 v6, vcc, s62, v6
	v_addc_co_u32_e32 v7, vcc, v10, v7, vcc
	v_lshlrev_b32_e32 v10, 3, v48
	v_add_co_u32_e32 v6, vcc, v6, v10
	v_addc_co_u32_e32 v7, vcc, 0, v7, vcc
	s_waitcnt lgkmcnt(0)
	global_store_dwordx2 v[6:7], v[8:9], off
	s_or_b64 exec, exec, s[0:1]
	s_and_saveexec_b64 s[0:1], s[36:37]
	s_cbranch_execz .LBB19_121
.LBB19_201:
	v_lshlrev_b32_e32 v6, 3, v60
	ds_read_b64 v[6:7], v6
	v_lshlrev_b32_e32 v8, 3, v2
	ds_read_b64 v[8:9], v8 offset:12288
	v_mov_b32_e32 v10, s63
	s_waitcnt lgkmcnt(1)
	v_lshlrev_b64 v[6:7], 3, v[6:7]
	v_add_co_u32_e32 v6, vcc, s62, v6
	v_addc_co_u32_e32 v7, vcc, v10, v7, vcc
	v_lshlrev_b32_e32 v10, 3, v49
	v_add_co_u32_e32 v6, vcc, v6, v10
	v_addc_co_u32_e32 v7, vcc, 0, v7, vcc
	s_waitcnt lgkmcnt(0)
	global_store_dwordx2 v[6:7], v[8:9], off
	s_or_b64 exec, exec, s[0:1]
	s_and_saveexec_b64 s[0:1], s[38:39]
	s_cbranch_execz .LBB19_122
.LBB19_202:
	v_lshlrev_b32_e32 v6, 3, v59
	ds_read_b64 v[6:7], v6
	v_lshlrev_b32_e32 v8, 3, v2
	ds_read_b64 v[8:9], v8 offset:14336
	v_mov_b32_e32 v10, s63
	s_waitcnt lgkmcnt(1)
	v_lshlrev_b64 v[6:7], 3, v[6:7]
	v_add_co_u32_e32 v6, vcc, s62, v6
	v_addc_co_u32_e32 v7, vcc, v10, v7, vcc
	v_lshlrev_b32_e32 v10, 3, v50
	v_add_co_u32_e32 v6, vcc, v6, v10
	v_addc_co_u32_e32 v7, vcc, 0, v7, vcc
	s_waitcnt lgkmcnt(0)
	global_store_dwordx2 v[6:7], v[8:9], off
	s_or_b64 exec, exec, s[0:1]
	s_and_saveexec_b64 s[0:1], s[40:41]
	s_cbranch_execz .LBB19_123
.LBB19_203:
	v_lshlrev_b32_e32 v6, 3, v58
	ds_read_b64 v[6:7], v6
	v_lshlrev_b32_e32 v8, 3, v2
	ds_read_b64 v[8:9], v8 offset:16384
	v_mov_b32_e32 v10, s63
	s_waitcnt lgkmcnt(1)
	v_lshlrev_b64 v[6:7], 3, v[6:7]
	v_add_co_u32_e32 v6, vcc, s62, v6
	v_addc_co_u32_e32 v7, vcc, v10, v7, vcc
	v_lshlrev_b32_e32 v10, 3, v51
	v_add_co_u32_e32 v6, vcc, v6, v10
	v_addc_co_u32_e32 v7, vcc, 0, v7, vcc
	s_waitcnt lgkmcnt(0)
	global_store_dwordx2 v[6:7], v[8:9], off
	s_or_b64 exec, exec, s[0:1]
	s_and_saveexec_b64 s[0:1], s[42:43]
	s_cbranch_execz .LBB19_124
.LBB19_204:
	v_lshlrev_b32_e32 v6, 3, v57
	ds_read_b64 v[6:7], v6
	v_lshlrev_b32_e32 v8, 3, v2
	ds_read_b64 v[8:9], v8 offset:18432
	v_mov_b32_e32 v10, s63
	s_waitcnt lgkmcnt(1)
	v_lshlrev_b64 v[6:7], 3, v[6:7]
	v_add_co_u32_e32 v6, vcc, s62, v6
	v_addc_co_u32_e32 v7, vcc, v10, v7, vcc
	v_lshlrev_b32_e32 v10, 3, v52
	v_add_co_u32_e32 v6, vcc, v6, v10
	v_addc_co_u32_e32 v7, vcc, 0, v7, vcc
	s_waitcnt lgkmcnt(0)
	global_store_dwordx2 v[6:7], v[8:9], off
	s_or_b64 exec, exec, s[0:1]
	s_and_saveexec_b64 s[0:1], s[44:45]
	s_cbranch_execz .LBB19_125
.LBB19_205:
	v_lshlrev_b32_e32 v6, 3, v56
	ds_read_b64 v[6:7], v6
	v_lshlrev_b32_e32 v8, 3, v2
	ds_read_b64 v[8:9], v8 offset:20480
	v_mov_b32_e32 v10, s63
	s_waitcnt lgkmcnt(1)
	v_lshlrev_b64 v[6:7], 3, v[6:7]
	v_add_co_u32_e32 v6, vcc, s62, v6
	v_addc_co_u32_e32 v7, vcc, v10, v7, vcc
	v_lshlrev_b32_e32 v10, 3, v53
	v_add_co_u32_e32 v6, vcc, v6, v10
	v_addc_co_u32_e32 v7, vcc, 0, v7, vcc
	s_waitcnt lgkmcnt(0)
	global_store_dwordx2 v[6:7], v[8:9], off
	s_or_b64 exec, exec, s[0:1]
	s_and_saveexec_b64 s[0:1], s[46:47]
	s_cbranch_execz .LBB19_126
.LBB19_206:
	v_lshlrev_b32_e32 v6, 3, v30
	ds_read_b64 v[6:7], v6
	v_lshlrev_b32_e32 v8, 3, v2
	ds_read_b64 v[8:9], v8 offset:22528
	v_mov_b32_e32 v10, s63
	s_waitcnt lgkmcnt(1)
	v_lshlrev_b64 v[6:7], 3, v[6:7]
	v_add_co_u32_e32 v6, vcc, s62, v6
	v_addc_co_u32_e32 v7, vcc, v10, v7, vcc
	v_lshlrev_b32_e32 v10, 3, v54
	v_add_co_u32_e32 v6, vcc, v6, v10
	v_addc_co_u32_e32 v7, vcc, 0, v7, vcc
	s_waitcnt lgkmcnt(0)
	global_store_dwordx2 v[6:7], v[8:9], off
	s_or_b64 exec, exec, s[0:1]
	s_and_saveexec_b64 s[0:1], s[48:49]
	s_cbranch_execnz .LBB19_127
	s_branch .LBB19_128
	.section	.rodata,"a",@progbits
	.p2align	6, 0x0
	.amdhsa_kernel _ZN7rocprim17ROCPRIM_304000_NS6detail25onesweep_iteration_kernelINS1_34wrapped_radix_sort_onesweep_configINS0_14default_configE12hip_bfloat16N2at4cuda3cub6detail10OpaqueTypeILi8EEEEELb0EPS5_SD_PSB_SE_mNS0_19identity_decomposerEEEvT1_T2_T3_T4_jPT5_SL_PNS1_23onesweep_lookback_stateET6_jjj
		.amdhsa_group_segment_fixed_size 26624
		.amdhsa_private_segment_fixed_size 0
		.amdhsa_kernarg_size 336
		.amdhsa_user_sgpr_count 6
		.amdhsa_user_sgpr_private_segment_buffer 1
		.amdhsa_user_sgpr_dispatch_ptr 0
		.amdhsa_user_sgpr_queue_ptr 0
		.amdhsa_user_sgpr_kernarg_segment_ptr 1
		.amdhsa_user_sgpr_dispatch_id 0
		.amdhsa_user_sgpr_flat_scratch_init 0
		.amdhsa_user_sgpr_kernarg_preload_length 0
		.amdhsa_user_sgpr_kernarg_preload_offset 0
		.amdhsa_user_sgpr_private_segment_size 0
		.amdhsa_uses_dynamic_stack 0
		.amdhsa_system_sgpr_private_segment_wavefront_offset 0
		.amdhsa_system_sgpr_workgroup_id_x 1
		.amdhsa_system_sgpr_workgroup_id_y 0
		.amdhsa_system_sgpr_workgroup_id_z 0
		.amdhsa_system_sgpr_workgroup_info 0
		.amdhsa_system_vgpr_workitem_id 2
		.amdhsa_next_free_vgpr 67
		.amdhsa_next_free_sgpr 75
		.amdhsa_accum_offset 68
		.amdhsa_reserve_vcc 1
		.amdhsa_reserve_flat_scratch 0
		.amdhsa_float_round_mode_32 0
		.amdhsa_float_round_mode_16_64 0
		.amdhsa_float_denorm_mode_32 3
		.amdhsa_float_denorm_mode_16_64 3
		.amdhsa_dx10_clamp 1
		.amdhsa_ieee_mode 1
		.amdhsa_fp16_overflow 0
		.amdhsa_tg_split 0
		.amdhsa_exception_fp_ieee_invalid_op 0
		.amdhsa_exception_fp_denorm_src 0
		.amdhsa_exception_fp_ieee_div_zero 0
		.amdhsa_exception_fp_ieee_overflow 0
		.amdhsa_exception_fp_ieee_underflow 0
		.amdhsa_exception_fp_ieee_inexact 0
		.amdhsa_exception_int_div_zero 0
	.end_amdhsa_kernel
	.section	.text._ZN7rocprim17ROCPRIM_304000_NS6detail25onesweep_iteration_kernelINS1_34wrapped_radix_sort_onesweep_configINS0_14default_configE12hip_bfloat16N2at4cuda3cub6detail10OpaqueTypeILi8EEEEELb0EPS5_SD_PSB_SE_mNS0_19identity_decomposerEEEvT1_T2_T3_T4_jPT5_SL_PNS1_23onesweep_lookback_stateET6_jjj,"axG",@progbits,_ZN7rocprim17ROCPRIM_304000_NS6detail25onesweep_iteration_kernelINS1_34wrapped_radix_sort_onesweep_configINS0_14default_configE12hip_bfloat16N2at4cuda3cub6detail10OpaqueTypeILi8EEEEELb0EPS5_SD_PSB_SE_mNS0_19identity_decomposerEEEvT1_T2_T3_T4_jPT5_SL_PNS1_23onesweep_lookback_stateET6_jjj,comdat
.Lfunc_end19:
	.size	_ZN7rocprim17ROCPRIM_304000_NS6detail25onesweep_iteration_kernelINS1_34wrapped_radix_sort_onesweep_configINS0_14default_configE12hip_bfloat16N2at4cuda3cub6detail10OpaqueTypeILi8EEEEELb0EPS5_SD_PSB_SE_mNS0_19identity_decomposerEEEvT1_T2_T3_T4_jPT5_SL_PNS1_23onesweep_lookback_stateET6_jjj, .Lfunc_end19-_ZN7rocprim17ROCPRIM_304000_NS6detail25onesweep_iteration_kernelINS1_34wrapped_radix_sort_onesweep_configINS0_14default_configE12hip_bfloat16N2at4cuda3cub6detail10OpaqueTypeILi8EEEEELb0EPS5_SD_PSB_SE_mNS0_19identity_decomposerEEEvT1_T2_T3_T4_jPT5_SL_PNS1_23onesweep_lookback_stateET6_jjj
                                        ; -- End function
	.section	.AMDGPU.csdata,"",@progbits
; Kernel info:
; codeLenInByte = 21016
; NumSgprs: 79
; NumVgprs: 67
; NumAgprs: 0
; TotalNumVgprs: 67
; ScratchSize: 0
; MemoryBound: 0
; FloatMode: 240
; IeeeMode: 1
; LDSByteSize: 26624 bytes/workgroup (compile time only)
; SGPRBlocks: 9
; VGPRBlocks: 8
; NumSGPRsForWavesPerEU: 79
; NumVGPRsForWavesPerEU: 67
; AccumOffset: 68
; Occupancy: 2
; WaveLimiterHint : 1
; COMPUTE_PGM_RSRC2:SCRATCH_EN: 0
; COMPUTE_PGM_RSRC2:USER_SGPR: 6
; COMPUTE_PGM_RSRC2:TRAP_HANDLER: 0
; COMPUTE_PGM_RSRC2:TGID_X_EN: 1
; COMPUTE_PGM_RSRC2:TGID_Y_EN: 0
; COMPUTE_PGM_RSRC2:TGID_Z_EN: 0
; COMPUTE_PGM_RSRC2:TIDIG_COMP_CNT: 2
; COMPUTE_PGM_RSRC3_GFX90A:ACCUM_OFFSET: 16
; COMPUTE_PGM_RSRC3_GFX90A:TG_SPLIT: 0
	.text
	.p2alignl 6, 3212836864
	.fill 256, 4, 3212836864
	.type	__hip_cuid_bfab2cbac4684916,@object ; @__hip_cuid_bfab2cbac4684916
	.section	.bss,"aw",@nobits
	.globl	__hip_cuid_bfab2cbac4684916
__hip_cuid_bfab2cbac4684916:
	.byte	0                               ; 0x0
	.size	__hip_cuid_bfab2cbac4684916, 1

	.ident	"AMD clang version 19.0.0git (https://github.com/RadeonOpenCompute/llvm-project roc-6.4.0 25133 c7fe45cf4b819c5991fe208aaa96edf142730f1d)"
	.section	".note.GNU-stack","",@progbits
	.addrsig
	.addrsig_sym __hip_cuid_bfab2cbac4684916
	.amdgpu_metadata
---
amdhsa.kernels:
  - .agpr_count:     0
    .args:
      - .address_space:  global
        .offset:         0
        .size:           8
        .value_kind:     global_buffer
      - .address_space:  global
        .offset:         8
        .size:           8
        .value_kind:     global_buffer
      - .address_space:  global
        .offset:         16
        .size:           8
        .value_kind:     global_buffer
      - .address_space:  global
        .offset:         24
        .size:           8
        .value_kind:     global_buffer
      - .offset:         32
        .size:           4
        .value_kind:     by_value
      - .offset:         36
        .size:           1
        .value_kind:     by_value
      - .offset:         40
        .size:           4
        .value_kind:     by_value
      - .offset:         44
        .size:           4
        .value_kind:     by_value
      - .offset:         48
        .size:           4
        .value_kind:     hidden_block_count_x
      - .offset:         52
        .size:           4
        .value_kind:     hidden_block_count_y
      - .offset:         56
        .size:           4
        .value_kind:     hidden_block_count_z
      - .offset:         60
        .size:           2
        .value_kind:     hidden_group_size_x
      - .offset:         62
        .size:           2
        .value_kind:     hidden_group_size_y
      - .offset:         64
        .size:           2
        .value_kind:     hidden_group_size_z
      - .offset:         66
        .size:           2
        .value_kind:     hidden_remainder_x
      - .offset:         68
        .size:           2
        .value_kind:     hidden_remainder_y
      - .offset:         70
        .size:           2
        .value_kind:     hidden_remainder_z
      - .offset:         88
        .size:           8
        .value_kind:     hidden_global_offset_x
      - .offset:         96
        .size:           8
        .value_kind:     hidden_global_offset_y
      - .offset:         104
        .size:           8
        .value_kind:     hidden_global_offset_z
      - .offset:         112
        .size:           2
        .value_kind:     hidden_grid_dims
    .group_segment_fixed_size: 8192
    .kernarg_segment_align: 8
    .kernarg_segment_size: 304
    .language:       OpenCL C
    .language_version:
      - 2
      - 0
    .max_flat_workgroup_size: 256
    .name:           _ZN7rocprim17ROCPRIM_304000_NS6detail28radix_sort_block_sort_kernelINS1_36wrapped_radix_sort_block_sort_configINS0_13kernel_configILj256ELj4ELj4294967295EEE12hip_bfloat16N2at4cuda3cub6detail10OpaqueTypeILi8EEEEELb1EPKS6_PS6_PKSC_PSC_NS0_19identity_decomposerEEEvT1_T2_T3_T4_jT5_jj
    .private_segment_fixed_size: 0
    .sgpr_count:     52
    .sgpr_spill_count: 0
    .symbol:         _ZN7rocprim17ROCPRIM_304000_NS6detail28radix_sort_block_sort_kernelINS1_36wrapped_radix_sort_block_sort_configINS0_13kernel_configILj256ELj4ELj4294967295EEE12hip_bfloat16N2at4cuda3cub6detail10OpaqueTypeILi8EEEEELb1EPKS6_PS6_PKSC_PSC_NS0_19identity_decomposerEEEvT1_T2_T3_T4_jT5_jj.kd
    .uniform_work_group_size: 1
    .uses_dynamic_stack: false
    .vgpr_count:     53
    .vgpr_spill_count: 0
    .wavefront_size: 64
  - .agpr_count:     0
    .args:           []
    .group_segment_fixed_size: 0
    .kernarg_segment_align: 4
    .kernarg_segment_size: 0
    .language:       OpenCL C
    .language_version:
      - 2
      - 0
    .max_flat_workgroup_size: 1024
    .name:           _ZN7rocprim17ROCPRIM_304000_NS6detail39device_merge_sort_compile_time_verifierINS1_36wrapped_merge_sort_block_sort_configINS1_28merge_sort_block_sort_configILj256ELj4ELNS0_20block_sort_algorithmE0EEE12hip_bfloat16N2at4cuda3cub6detail10OpaqueTypeILi8EEEEENS1_37wrapped_merge_sort_block_merge_configINS0_14default_configES7_SD_EEEEvv
    .private_segment_fixed_size: 0
    .sgpr_count:     4
    .sgpr_spill_count: 0
    .symbol:         _ZN7rocprim17ROCPRIM_304000_NS6detail39device_merge_sort_compile_time_verifierINS1_36wrapped_merge_sort_block_sort_configINS1_28merge_sort_block_sort_configILj256ELj4ELNS0_20block_sort_algorithmE0EEE12hip_bfloat16N2at4cuda3cub6detail10OpaqueTypeILi8EEEEENS1_37wrapped_merge_sort_block_merge_configINS0_14default_configES7_SD_EEEEvv.kd
    .uniform_work_group_size: 1
    .uses_dynamic_stack: false
    .vgpr_count:     0
    .vgpr_spill_count: 0
    .wavefront_size: 64
  - .agpr_count:     0
    .args:
      - .address_space:  global
        .offset:         0
        .size:           8
        .value_kind:     global_buffer
      - .offset:         8
        .size:           4
        .value_kind:     by_value
      - .offset:         12
        .size:           4
        .value_kind:     by_value
      - .address_space:  global
        .offset:         16
        .size:           8
        .value_kind:     global_buffer
      - .offset:         24
        .size:           1
        .value_kind:     by_value
      - .offset:         28
        .size:           4
        .value_kind:     by_value
    .group_segment_fixed_size: 0
    .kernarg_segment_align: 8
    .kernarg_segment_size: 32
    .language:       OpenCL C
    .language_version:
      - 2
      - 0
    .max_flat_workgroup_size: 128
    .name:           _ZN7rocprim17ROCPRIM_304000_NS6detail45device_block_merge_mergepath_partition_kernelINS1_37wrapped_merge_sort_block_merge_configINS0_14default_configE12hip_bfloat16N2at4cuda3cub6detail10OpaqueTypeILi8EEEEEPS5_jNS1_19radix_merge_compareILb1ELb0ES5_NS0_19identity_decomposerEEEEEvT0_T1_jPSI_T2_SI_
    .private_segment_fixed_size: 0
    .sgpr_count:     11
    .sgpr_spill_count: 0
    .symbol:         _ZN7rocprim17ROCPRIM_304000_NS6detail45device_block_merge_mergepath_partition_kernelINS1_37wrapped_merge_sort_block_merge_configINS0_14default_configE12hip_bfloat16N2at4cuda3cub6detail10OpaqueTypeILi8EEEEEPS5_jNS1_19radix_merge_compareILb1ELb0ES5_NS0_19identity_decomposerEEEEEvT0_T1_jPSI_T2_SI_.kd
    .uniform_work_group_size: 1
    .uses_dynamic_stack: false
    .vgpr_count:     16
    .vgpr_spill_count: 0
    .wavefront_size: 64
  - .agpr_count:     0
    .args:
      - .address_space:  global
        .offset:         0
        .size:           8
        .value_kind:     global_buffer
      - .address_space:  global
        .offset:         8
        .size:           8
        .value_kind:     global_buffer
      - .address_space:  global
        .offset:         16
        .size:           8
        .value_kind:     global_buffer
      - .address_space:  global
        .offset:         24
        .size:           8
        .value_kind:     global_buffer
      - .offset:         32
        .size:           4
        .value_kind:     by_value
      - .offset:         36
        .size:           4
        .value_kind:     by_value
      - .offset:         40
        .size:           4
        .value_kind:     by_value
      - .offset:         44
        .size:           1
        .value_kind:     by_value
      - .address_space:  global
        .offset:         48
        .size:           8
        .value_kind:     global_buffer
      - .address_space:  global
        .offset:         56
        .size:           8
        .value_kind:     global_buffer
      - .offset:         64
        .size:           4
        .value_kind:     hidden_block_count_x
      - .offset:         68
        .size:           4
        .value_kind:     hidden_block_count_y
      - .offset:         72
        .size:           4
        .value_kind:     hidden_block_count_z
      - .offset:         76
        .size:           2
        .value_kind:     hidden_group_size_x
      - .offset:         78
        .size:           2
        .value_kind:     hidden_group_size_y
      - .offset:         80
        .size:           2
        .value_kind:     hidden_group_size_z
      - .offset:         82
        .size:           2
        .value_kind:     hidden_remainder_x
      - .offset:         84
        .size:           2
        .value_kind:     hidden_remainder_y
      - .offset:         86
        .size:           2
        .value_kind:     hidden_remainder_z
      - .offset:         104
        .size:           8
        .value_kind:     hidden_global_offset_x
      - .offset:         112
        .size:           8
        .value_kind:     hidden_global_offset_y
      - .offset:         120
        .size:           8
        .value_kind:     hidden_global_offset_z
      - .offset:         128
        .size:           2
        .value_kind:     hidden_grid_dims
    .group_segment_fixed_size: 8208
    .kernarg_segment_align: 8
    .kernarg_segment_size: 320
    .language:       OpenCL C
    .language_version:
      - 2
      - 0
    .max_flat_workgroup_size: 256
    .name:           _ZN7rocprim17ROCPRIM_304000_NS6detail35device_block_merge_mergepath_kernelINS1_37wrapped_merge_sort_block_merge_configINS0_14default_configE12hip_bfloat16N2at4cuda3cub6detail10OpaqueTypeILi8EEEEEPS5_SD_PSB_SE_jNS1_19radix_merge_compareILb1ELb0ES5_NS0_19identity_decomposerEEEEEvT0_T1_T2_T3_T4_SM_jT5_PKSM_NS1_7vsmem_tE
    .private_segment_fixed_size: 0
    .sgpr_count:     34
    .sgpr_spill_count: 0
    .symbol:         _ZN7rocprim17ROCPRIM_304000_NS6detail35device_block_merge_mergepath_kernelINS1_37wrapped_merge_sort_block_merge_configINS0_14default_configE12hip_bfloat16N2at4cuda3cub6detail10OpaqueTypeILi8EEEEEPS5_SD_PSB_SE_jNS1_19radix_merge_compareILb1ELb0ES5_NS0_19identity_decomposerEEEEEvT0_T1_T2_T3_T4_SM_jT5_PKSM_NS1_7vsmem_tE.kd
    .uniform_work_group_size: 1
    .uses_dynamic_stack: false
    .vgpr_count:     26
    .vgpr_spill_count: 0
    .wavefront_size: 64
  - .agpr_count:     0
    .args:
      - .address_space:  global
        .offset:         0
        .size:           8
        .value_kind:     global_buffer
      - .address_space:  global
        .offset:         8
        .size:           8
        .value_kind:     global_buffer
      - .address_space:  global
        .offset:         16
        .size:           8
        .value_kind:     global_buffer
      - .address_space:  global
        .offset:         24
        .size:           8
        .value_kind:     global_buffer
      - .offset:         32
        .size:           4
        .value_kind:     by_value
      - .offset:         36
        .size:           4
        .value_kind:     by_value
      - .offset:         40
        .size:           1
        .value_kind:     by_value
    .group_segment_fixed_size: 0
    .kernarg_segment_align: 8
    .kernarg_segment_size: 44
    .language:       OpenCL C
    .language_version:
      - 2
      - 0
    .max_flat_workgroup_size: 256
    .name:           _ZN7rocprim17ROCPRIM_304000_NS6detail33device_block_merge_oddeven_kernelINS1_37wrapped_merge_sort_block_merge_configINS0_14default_configE12hip_bfloat16N2at4cuda3cub6detail10OpaqueTypeILi8EEEEEPS5_SD_PSB_SE_jNS1_19radix_merge_compareILb1ELb0ES5_NS0_19identity_decomposerEEEEEvT0_T1_T2_T3_T4_SM_T5_
    .private_segment_fixed_size: 0
    .sgpr_count:     27
    .sgpr_spill_count: 0
    .symbol:         _ZN7rocprim17ROCPRIM_304000_NS6detail33device_block_merge_oddeven_kernelINS1_37wrapped_merge_sort_block_merge_configINS0_14default_configE12hip_bfloat16N2at4cuda3cub6detail10OpaqueTypeILi8EEEEEPS5_SD_PSB_SE_jNS1_19radix_merge_compareILb1ELb0ES5_NS0_19identity_decomposerEEEEEvT0_T1_T2_T3_T4_SM_T5_.kd
    .uniform_work_group_size: 1
    .uses_dynamic_stack: false
    .vgpr_count:     12
    .vgpr_spill_count: 0
    .wavefront_size: 64
  - .agpr_count:     0
    .args:
      - .address_space:  global
        .offset:         0
        .size:           8
        .value_kind:     global_buffer
      - .offset:         8
        .size:           8
        .value_kind:     by_value
      - .address_space:  global
        .offset:         16
        .size:           8
        .value_kind:     global_buffer
      - .offset:         24
        .size:           1
        .value_kind:     by_value
      - .offset:         32
        .size:           4
        .value_kind:     hidden_block_count_x
      - .offset:         36
        .size:           4
        .value_kind:     hidden_block_count_y
      - .offset:         40
        .size:           4
        .value_kind:     hidden_block_count_z
      - .offset:         44
        .size:           2
        .value_kind:     hidden_group_size_x
      - .offset:         46
        .size:           2
        .value_kind:     hidden_group_size_y
      - .offset:         48
        .size:           2
        .value_kind:     hidden_group_size_z
      - .offset:         50
        .size:           2
        .value_kind:     hidden_remainder_x
      - .offset:         52
        .size:           2
        .value_kind:     hidden_remainder_y
      - .offset:         54
        .size:           2
        .value_kind:     hidden_remainder_z
      - .offset:         72
        .size:           8
        .value_kind:     hidden_global_offset_x
      - .offset:         80
        .size:           8
        .value_kind:     hidden_global_offset_y
      - .offset:         88
        .size:           8
        .value_kind:     hidden_global_offset_z
      - .offset:         96
        .size:           2
        .value_kind:     hidden_grid_dims
    .group_segment_fixed_size: 0
    .kernarg_segment_align: 8
    .kernarg_segment_size: 288
    .language:       OpenCL C
    .language_version:
      - 2
      - 0
    .max_flat_workgroup_size: 64
    .name:           _ZN7rocprim17ROCPRIM_304000_NS6detail16transform_kernelINS1_24wrapped_transform_configINS0_14default_configE12hip_bfloat16EES5_PS5_S7_NS0_8identityIS5_EEEEvT1_mT2_T3_
    .private_segment_fixed_size: 0
    .sgpr_count:     24
    .sgpr_spill_count: 0
    .symbol:         _ZN7rocprim17ROCPRIM_304000_NS6detail16transform_kernelINS1_24wrapped_transform_configINS0_14default_configE12hip_bfloat16EES5_PS5_S7_NS0_8identityIS5_EEEEvT1_mT2_T3_.kd
    .uniform_work_group_size: 1
    .uses_dynamic_stack: false
    .vgpr_count:     13
    .vgpr_spill_count: 0
    .wavefront_size: 64
  - .agpr_count:     0
    .args:
      - .address_space:  global
        .offset:         0
        .size:           8
        .value_kind:     global_buffer
      - .offset:         8
        .size:           8
        .value_kind:     by_value
      - .address_space:  global
        .offset:         16
        .size:           8
        .value_kind:     global_buffer
      - .offset:         24
        .size:           1
        .value_kind:     by_value
      - .offset:         32
        .size:           4
        .value_kind:     hidden_block_count_x
      - .offset:         36
        .size:           4
        .value_kind:     hidden_block_count_y
      - .offset:         40
        .size:           4
        .value_kind:     hidden_block_count_z
      - .offset:         44
        .size:           2
        .value_kind:     hidden_group_size_x
      - .offset:         46
        .size:           2
        .value_kind:     hidden_group_size_y
      - .offset:         48
        .size:           2
        .value_kind:     hidden_group_size_z
      - .offset:         50
        .size:           2
        .value_kind:     hidden_remainder_x
      - .offset:         52
        .size:           2
        .value_kind:     hidden_remainder_y
      - .offset:         54
        .size:           2
        .value_kind:     hidden_remainder_z
      - .offset:         72
        .size:           8
        .value_kind:     hidden_global_offset_x
      - .offset:         80
        .size:           8
        .value_kind:     hidden_global_offset_y
      - .offset:         88
        .size:           8
        .value_kind:     hidden_global_offset_z
      - .offset:         96
        .size:           2
        .value_kind:     hidden_grid_dims
    .group_segment_fixed_size: 0
    .kernarg_segment_align: 8
    .kernarg_segment_size: 288
    .language:       OpenCL C
    .language_version:
      - 2
      - 0
    .max_flat_workgroup_size: 256
    .name:           _ZN7rocprim17ROCPRIM_304000_NS6detail16transform_kernelINS1_24wrapped_transform_configINS0_14default_configEN2at4cuda3cub6detail10OpaqueTypeILi8EEEEESA_PSA_SC_NS0_8identityISA_EEEEvT1_mT2_T3_
    .private_segment_fixed_size: 0
    .sgpr_count:     16
    .sgpr_spill_count: 0
    .symbol:         _ZN7rocprim17ROCPRIM_304000_NS6detail16transform_kernelINS1_24wrapped_transform_configINS0_14default_configEN2at4cuda3cub6detail10OpaqueTypeILi8EEEEESA_PSA_SC_NS0_8identityISA_EEEEvT1_mT2_T3_.kd
    .uniform_work_group_size: 1
    .uses_dynamic_stack: false
    .vgpr_count:     8
    .vgpr_spill_count: 0
    .wavefront_size: 64
  - .agpr_count:     0
    .args:
      - .address_space:  global
        .offset:         0
        .size:           8
        .value_kind:     global_buffer
      - .address_space:  global
        .offset:         8
        .size:           8
        .value_kind:     global_buffer
      - .offset:         16
        .size:           8
        .value_kind:     by_value
      - .offset:         24
        .size:           8
        .value_kind:     by_value
      - .offset:         32
        .size:           1
        .value_kind:     by_value
      - .offset:         36
        .size:           4
        .value_kind:     by_value
      - .offset:         40
        .size:           4
        .value_kind:     by_value
    .group_segment_fixed_size: 8192
    .kernarg_segment_align: 8
    .kernarg_segment_size: 44
    .language:       OpenCL C
    .language_version:
      - 2
      - 0
    .max_flat_workgroup_size: 256
    .name:           _ZN7rocprim17ROCPRIM_304000_NS6detail26onesweep_histograms_kernelINS1_34wrapped_radix_sort_onesweep_configINS0_14default_configE12hip_bfloat16N2at4cuda3cub6detail10OpaqueTypeILi8EEEEELb1EPKS5_mNS0_19identity_decomposerEEEvT1_PT2_SH_SH_T3_jj
    .private_segment_fixed_size: 0
    .sgpr_count:     44
    .sgpr_spill_count: 0
    .symbol:         _ZN7rocprim17ROCPRIM_304000_NS6detail26onesweep_histograms_kernelINS1_34wrapped_radix_sort_onesweep_configINS0_14default_configE12hip_bfloat16N2at4cuda3cub6detail10OpaqueTypeILi8EEEEELb1EPKS5_mNS0_19identity_decomposerEEEvT1_PT2_SH_SH_T3_jj.kd
    .uniform_work_group_size: 1
    .uses_dynamic_stack: false
    .vgpr_count:     24
    .vgpr_spill_count: 0
    .wavefront_size: 64
  - .agpr_count:     0
    .args:
      - .address_space:  global
        .offset:         0
        .size:           8
        .value_kind:     global_buffer
    .group_segment_fixed_size: 32
    .kernarg_segment_align: 8
    .kernarg_segment_size: 8
    .language:       OpenCL C
    .language_version:
      - 2
      - 0
    .max_flat_workgroup_size: 256
    .name:           _ZN7rocprim17ROCPRIM_304000_NS6detail31onesweep_scan_histograms_kernelINS1_34wrapped_radix_sort_onesweep_configINS0_14default_configE12hip_bfloat16N2at4cuda3cub6detail10OpaqueTypeILi8EEEEEmEEvPT0_
    .private_segment_fixed_size: 0
    .sgpr_count:     14
    .sgpr_spill_count: 0
    .symbol:         _ZN7rocprim17ROCPRIM_304000_NS6detail31onesweep_scan_histograms_kernelINS1_34wrapped_radix_sort_onesweep_configINS0_14default_configE12hip_bfloat16N2at4cuda3cub6detail10OpaqueTypeILi8EEEEEmEEvPT0_.kd
    .uniform_work_group_size: 1
    .uses_dynamic_stack: false
    .vgpr_count:     13
    .vgpr_spill_count: 0
    .wavefront_size: 64
  - .agpr_count:     0
    .args:
      - .address_space:  global
        .offset:         0
        .size:           8
        .value_kind:     global_buffer
      - .offset:         8
        .size:           8
        .value_kind:     by_value
      - .address_space:  global
        .offset:         16
        .size:           8
        .value_kind:     global_buffer
      - .offset:         24
        .size:           1
        .value_kind:     by_value
      - .offset:         32
        .size:           4
        .value_kind:     hidden_block_count_x
      - .offset:         36
        .size:           4
        .value_kind:     hidden_block_count_y
      - .offset:         40
        .size:           4
        .value_kind:     hidden_block_count_z
      - .offset:         44
        .size:           2
        .value_kind:     hidden_group_size_x
      - .offset:         46
        .size:           2
        .value_kind:     hidden_group_size_y
      - .offset:         48
        .size:           2
        .value_kind:     hidden_group_size_z
      - .offset:         50
        .size:           2
        .value_kind:     hidden_remainder_x
      - .offset:         52
        .size:           2
        .value_kind:     hidden_remainder_y
      - .offset:         54
        .size:           2
        .value_kind:     hidden_remainder_z
      - .offset:         72
        .size:           8
        .value_kind:     hidden_global_offset_x
      - .offset:         80
        .size:           8
        .value_kind:     hidden_global_offset_y
      - .offset:         88
        .size:           8
        .value_kind:     hidden_global_offset_z
      - .offset:         96
        .size:           2
        .value_kind:     hidden_grid_dims
    .group_segment_fixed_size: 0
    .kernarg_segment_align: 8
    .kernarg_segment_size: 288
    .language:       OpenCL C
    .language_version:
      - 2
      - 0
    .max_flat_workgroup_size: 64
    .name:           _ZN7rocprim17ROCPRIM_304000_NS6detail16transform_kernelINS1_24wrapped_transform_configINS0_14default_configE12hip_bfloat16EES5_PKS5_PS5_NS0_8identityIS5_EEEEvT1_mT2_T3_
    .private_segment_fixed_size: 0
    .sgpr_count:     24
    .sgpr_spill_count: 0
    .symbol:         _ZN7rocprim17ROCPRIM_304000_NS6detail16transform_kernelINS1_24wrapped_transform_configINS0_14default_configE12hip_bfloat16EES5_PKS5_PS5_NS0_8identityIS5_EEEEvT1_mT2_T3_.kd
    .uniform_work_group_size: 1
    .uses_dynamic_stack: false
    .vgpr_count:     13
    .vgpr_spill_count: 0
    .wavefront_size: 64
  - .agpr_count:     0
    .args:
      - .address_space:  global
        .offset:         0
        .size:           8
        .value_kind:     global_buffer
      - .offset:         8
        .size:           8
        .value_kind:     by_value
      - .address_space:  global
        .offset:         16
        .size:           8
        .value_kind:     global_buffer
      - .offset:         24
        .size:           1
        .value_kind:     by_value
      - .offset:         32
        .size:           4
        .value_kind:     hidden_block_count_x
      - .offset:         36
        .size:           4
        .value_kind:     hidden_block_count_y
      - .offset:         40
        .size:           4
        .value_kind:     hidden_block_count_z
      - .offset:         44
        .size:           2
        .value_kind:     hidden_group_size_x
      - .offset:         46
        .size:           2
        .value_kind:     hidden_group_size_y
      - .offset:         48
        .size:           2
        .value_kind:     hidden_group_size_z
      - .offset:         50
        .size:           2
        .value_kind:     hidden_remainder_x
      - .offset:         52
        .size:           2
        .value_kind:     hidden_remainder_y
      - .offset:         54
        .size:           2
        .value_kind:     hidden_remainder_z
      - .offset:         72
        .size:           8
        .value_kind:     hidden_global_offset_x
      - .offset:         80
        .size:           8
        .value_kind:     hidden_global_offset_y
      - .offset:         88
        .size:           8
        .value_kind:     hidden_global_offset_z
      - .offset:         96
        .size:           2
        .value_kind:     hidden_grid_dims
    .group_segment_fixed_size: 0
    .kernarg_segment_align: 8
    .kernarg_segment_size: 288
    .language:       OpenCL C
    .language_version:
      - 2
      - 0
    .max_flat_workgroup_size: 256
    .name:           _ZN7rocprim17ROCPRIM_304000_NS6detail16transform_kernelINS1_24wrapped_transform_configINS0_14default_configEN2at4cuda3cub6detail10OpaqueTypeILi8EEEEESA_PKSA_PSA_NS0_8identityISA_EEEEvT1_mT2_T3_
    .private_segment_fixed_size: 0
    .sgpr_count:     16
    .sgpr_spill_count: 0
    .symbol:         _ZN7rocprim17ROCPRIM_304000_NS6detail16transform_kernelINS1_24wrapped_transform_configINS0_14default_configEN2at4cuda3cub6detail10OpaqueTypeILi8EEEEESA_PKSA_PSA_NS0_8identityISA_EEEEvT1_mT2_T3_.kd
    .uniform_work_group_size: 1
    .uses_dynamic_stack: false
    .vgpr_count:     8
    .vgpr_spill_count: 0
    .wavefront_size: 64
  - .agpr_count:     0
    .args:
      - .address_space:  global
        .offset:         0
        .size:           8
        .value_kind:     global_buffer
      - .address_space:  global
        .offset:         8
        .size:           8
        .value_kind:     global_buffer
      - .address_space:  global
        .offset:         16
        .size:           8
        .value_kind:     global_buffer
      - .address_space:  global
        .offset:         24
        .size:           8
        .value_kind:     global_buffer
      - .offset:         32
        .size:           4
        .value_kind:     by_value
      - .address_space:  global
        .offset:         40
        .size:           8
        .value_kind:     global_buffer
      - .address_space:  global
        .offset:         48
        .size:           8
        .value_kind:     global_buffer
      - .address_space:  global
        .offset:         56
        .size:           8
        .value_kind:     global_buffer
      - .offset:         64
        .size:           1
        .value_kind:     by_value
      - .offset:         68
        .size:           4
        .value_kind:     by_value
      - .offset:         72
        .size:           4
        .value_kind:     by_value
      - .offset:         76
        .size:           4
        .value_kind:     by_value
      - .offset:         80
        .size:           4
        .value_kind:     hidden_block_count_x
      - .offset:         84
        .size:           4
        .value_kind:     hidden_block_count_y
      - .offset:         88
        .size:           4
        .value_kind:     hidden_block_count_z
      - .offset:         92
        .size:           2
        .value_kind:     hidden_group_size_x
      - .offset:         94
        .size:           2
        .value_kind:     hidden_group_size_y
      - .offset:         96
        .size:           2
        .value_kind:     hidden_group_size_z
      - .offset:         98
        .size:           2
        .value_kind:     hidden_remainder_x
      - .offset:         100
        .size:           2
        .value_kind:     hidden_remainder_y
      - .offset:         102
        .size:           2
        .value_kind:     hidden_remainder_z
      - .offset:         120
        .size:           8
        .value_kind:     hidden_global_offset_x
      - .offset:         128
        .size:           8
        .value_kind:     hidden_global_offset_y
      - .offset:         136
        .size:           8
        .value_kind:     hidden_global_offset_z
      - .offset:         144
        .size:           2
        .value_kind:     hidden_grid_dims
    .group_segment_fixed_size: 26624
    .kernarg_segment_align: 8
    .kernarg_segment_size: 336
    .language:       OpenCL C
    .language_version:
      - 2
      - 0
    .max_flat_workgroup_size: 256
    .name:           _ZN7rocprim17ROCPRIM_304000_NS6detail25onesweep_iteration_kernelINS1_34wrapped_radix_sort_onesweep_configINS0_14default_configE12hip_bfloat16N2at4cuda3cub6detail10OpaqueTypeILi8EEEEELb1EPKS5_PS5_PKSB_PSB_mNS0_19identity_decomposerEEEvT1_T2_T3_T4_jPT5_SP_PNS1_23onesweep_lookback_stateET6_jjj
    .private_segment_fixed_size: 0
    .sgpr_count:     79
    .sgpr_spill_count: 0
    .symbol:         _ZN7rocprim17ROCPRIM_304000_NS6detail25onesweep_iteration_kernelINS1_34wrapped_radix_sort_onesweep_configINS0_14default_configE12hip_bfloat16N2at4cuda3cub6detail10OpaqueTypeILi8EEEEELb1EPKS5_PS5_PKSB_PSB_mNS0_19identity_decomposerEEEvT1_T2_T3_T4_jPT5_SP_PNS1_23onesweep_lookback_stateET6_jjj.kd
    .uniform_work_group_size: 1
    .uses_dynamic_stack: false
    .vgpr_count:     67
    .vgpr_spill_count: 0
    .wavefront_size: 64
  - .agpr_count:     0
    .args:
      - .address_space:  global
        .offset:         0
        .size:           8
        .value_kind:     global_buffer
      - .address_space:  global
        .offset:         8
        .size:           8
        .value_kind:     global_buffer
      - .address_space:  global
        .offset:         16
        .size:           8
        .value_kind:     global_buffer
      - .address_space:  global
        .offset:         24
        .size:           8
        .value_kind:     global_buffer
      - .offset:         32
        .size:           4
        .value_kind:     by_value
      - .address_space:  global
        .offset:         40
        .size:           8
        .value_kind:     global_buffer
      - .address_space:  global
        .offset:         48
        .size:           8
        .value_kind:     global_buffer
      - .address_space:  global
        .offset:         56
        .size:           8
        .value_kind:     global_buffer
      - .offset:         64
        .size:           1
        .value_kind:     by_value
      - .offset:         68
        .size:           4
        .value_kind:     by_value
      - .offset:         72
        .size:           4
        .value_kind:     by_value
      - .offset:         76
        .size:           4
        .value_kind:     by_value
      - .offset:         80
        .size:           4
        .value_kind:     hidden_block_count_x
      - .offset:         84
        .size:           4
        .value_kind:     hidden_block_count_y
      - .offset:         88
        .size:           4
        .value_kind:     hidden_block_count_z
      - .offset:         92
        .size:           2
        .value_kind:     hidden_group_size_x
      - .offset:         94
        .size:           2
        .value_kind:     hidden_group_size_y
      - .offset:         96
        .size:           2
        .value_kind:     hidden_group_size_z
      - .offset:         98
        .size:           2
        .value_kind:     hidden_remainder_x
      - .offset:         100
        .size:           2
        .value_kind:     hidden_remainder_y
      - .offset:         102
        .size:           2
        .value_kind:     hidden_remainder_z
      - .offset:         120
        .size:           8
        .value_kind:     hidden_global_offset_x
      - .offset:         128
        .size:           8
        .value_kind:     hidden_global_offset_y
      - .offset:         136
        .size:           8
        .value_kind:     hidden_global_offset_z
      - .offset:         144
        .size:           2
        .value_kind:     hidden_grid_dims
    .group_segment_fixed_size: 26624
    .kernarg_segment_align: 8
    .kernarg_segment_size: 336
    .language:       OpenCL C
    .language_version:
      - 2
      - 0
    .max_flat_workgroup_size: 256
    .name:           _ZN7rocprim17ROCPRIM_304000_NS6detail25onesweep_iteration_kernelINS1_34wrapped_radix_sort_onesweep_configINS0_14default_configE12hip_bfloat16N2at4cuda3cub6detail10OpaqueTypeILi8EEEEELb1EPS5_SD_PSB_SE_mNS0_19identity_decomposerEEEvT1_T2_T3_T4_jPT5_SL_PNS1_23onesweep_lookback_stateET6_jjj
    .private_segment_fixed_size: 0
    .sgpr_count:     79
    .sgpr_spill_count: 0
    .symbol:         _ZN7rocprim17ROCPRIM_304000_NS6detail25onesweep_iteration_kernelINS1_34wrapped_radix_sort_onesweep_configINS0_14default_configE12hip_bfloat16N2at4cuda3cub6detail10OpaqueTypeILi8EEEEELb1EPS5_SD_PSB_SE_mNS0_19identity_decomposerEEEvT1_T2_T3_T4_jPT5_SL_PNS1_23onesweep_lookback_stateET6_jjj.kd
    .uniform_work_group_size: 1
    .uses_dynamic_stack: false
    .vgpr_count:     67
    .vgpr_spill_count: 0
    .wavefront_size: 64
  - .agpr_count:     0
    .args:
      - .address_space:  global
        .offset:         0
        .size:           8
        .value_kind:     global_buffer
      - .address_space:  global
        .offset:         8
        .size:           8
        .value_kind:     global_buffer
      - .address_space:  global
        .offset:         16
        .size:           8
        .value_kind:     global_buffer
      - .address_space:  global
        .offset:         24
        .size:           8
        .value_kind:     global_buffer
      - .offset:         32
        .size:           4
        .value_kind:     by_value
      - .offset:         36
        .size:           1
        .value_kind:     by_value
      - .offset:         40
        .size:           4
        .value_kind:     by_value
      - .offset:         44
        .size:           4
        .value_kind:     by_value
      - .offset:         48
        .size:           4
        .value_kind:     hidden_block_count_x
      - .offset:         52
        .size:           4
        .value_kind:     hidden_block_count_y
      - .offset:         56
        .size:           4
        .value_kind:     hidden_block_count_z
      - .offset:         60
        .size:           2
        .value_kind:     hidden_group_size_x
      - .offset:         62
        .size:           2
        .value_kind:     hidden_group_size_y
      - .offset:         64
        .size:           2
        .value_kind:     hidden_group_size_z
      - .offset:         66
        .size:           2
        .value_kind:     hidden_remainder_x
      - .offset:         68
        .size:           2
        .value_kind:     hidden_remainder_y
      - .offset:         70
        .size:           2
        .value_kind:     hidden_remainder_z
      - .offset:         88
        .size:           8
        .value_kind:     hidden_global_offset_x
      - .offset:         96
        .size:           8
        .value_kind:     hidden_global_offset_y
      - .offset:         104
        .size:           8
        .value_kind:     hidden_global_offset_z
      - .offset:         112
        .size:           2
        .value_kind:     hidden_grid_dims
    .group_segment_fixed_size: 8192
    .kernarg_segment_align: 8
    .kernarg_segment_size: 304
    .language:       OpenCL C
    .language_version:
      - 2
      - 0
    .max_flat_workgroup_size: 256
    .name:           _ZN7rocprim17ROCPRIM_304000_NS6detail28radix_sort_block_sort_kernelINS1_36wrapped_radix_sort_block_sort_configINS0_13kernel_configILj256ELj4ELj4294967295EEE12hip_bfloat16N2at4cuda3cub6detail10OpaqueTypeILi8EEEEELb0EPKS6_PS6_PKSC_PSC_NS0_19identity_decomposerEEEvT1_T2_T3_T4_jT5_jj
    .private_segment_fixed_size: 0
    .sgpr_count:     52
    .sgpr_spill_count: 0
    .symbol:         _ZN7rocprim17ROCPRIM_304000_NS6detail28radix_sort_block_sort_kernelINS1_36wrapped_radix_sort_block_sort_configINS0_13kernel_configILj256ELj4ELj4294967295EEE12hip_bfloat16N2at4cuda3cub6detail10OpaqueTypeILi8EEEEELb0EPKS6_PS6_PKSC_PSC_NS0_19identity_decomposerEEEvT1_T2_T3_T4_jT5_jj.kd
    .uniform_work_group_size: 1
    .uses_dynamic_stack: false
    .vgpr_count:     53
    .vgpr_spill_count: 0
    .wavefront_size: 64
  - .agpr_count:     0
    .args:
      - .address_space:  global
        .offset:         0
        .size:           8
        .value_kind:     global_buffer
      - .offset:         8
        .size:           4
        .value_kind:     by_value
      - .offset:         12
        .size:           4
        .value_kind:     by_value
      - .address_space:  global
        .offset:         16
        .size:           8
        .value_kind:     global_buffer
      - .offset:         24
        .size:           1
        .value_kind:     by_value
      - .offset:         28
        .size:           4
        .value_kind:     by_value
    .group_segment_fixed_size: 0
    .kernarg_segment_align: 8
    .kernarg_segment_size: 32
    .language:       OpenCL C
    .language_version:
      - 2
      - 0
    .max_flat_workgroup_size: 128
    .name:           _ZN7rocprim17ROCPRIM_304000_NS6detail45device_block_merge_mergepath_partition_kernelINS1_37wrapped_merge_sort_block_merge_configINS0_14default_configE12hip_bfloat16N2at4cuda3cub6detail10OpaqueTypeILi8EEEEEPS5_jNS1_19radix_merge_compareILb0ELb0ES5_NS0_19identity_decomposerEEEEEvT0_T1_jPSI_T2_SI_
    .private_segment_fixed_size: 0
    .sgpr_count:     11
    .sgpr_spill_count: 0
    .symbol:         _ZN7rocprim17ROCPRIM_304000_NS6detail45device_block_merge_mergepath_partition_kernelINS1_37wrapped_merge_sort_block_merge_configINS0_14default_configE12hip_bfloat16N2at4cuda3cub6detail10OpaqueTypeILi8EEEEEPS5_jNS1_19radix_merge_compareILb0ELb0ES5_NS0_19identity_decomposerEEEEEvT0_T1_jPSI_T2_SI_.kd
    .uniform_work_group_size: 1
    .uses_dynamic_stack: false
    .vgpr_count:     16
    .vgpr_spill_count: 0
    .wavefront_size: 64
  - .agpr_count:     0
    .args:
      - .address_space:  global
        .offset:         0
        .size:           8
        .value_kind:     global_buffer
      - .address_space:  global
        .offset:         8
        .size:           8
        .value_kind:     global_buffer
      - .address_space:  global
        .offset:         16
        .size:           8
        .value_kind:     global_buffer
      - .address_space:  global
        .offset:         24
        .size:           8
        .value_kind:     global_buffer
      - .offset:         32
        .size:           4
        .value_kind:     by_value
      - .offset:         36
        .size:           4
        .value_kind:     by_value
      - .offset:         40
        .size:           4
        .value_kind:     by_value
      - .offset:         44
        .size:           1
        .value_kind:     by_value
      - .address_space:  global
        .offset:         48
        .size:           8
        .value_kind:     global_buffer
      - .address_space:  global
        .offset:         56
        .size:           8
        .value_kind:     global_buffer
      - .offset:         64
        .size:           4
        .value_kind:     hidden_block_count_x
      - .offset:         68
        .size:           4
        .value_kind:     hidden_block_count_y
      - .offset:         72
        .size:           4
        .value_kind:     hidden_block_count_z
      - .offset:         76
        .size:           2
        .value_kind:     hidden_group_size_x
      - .offset:         78
        .size:           2
        .value_kind:     hidden_group_size_y
      - .offset:         80
        .size:           2
        .value_kind:     hidden_group_size_z
      - .offset:         82
        .size:           2
        .value_kind:     hidden_remainder_x
      - .offset:         84
        .size:           2
        .value_kind:     hidden_remainder_y
      - .offset:         86
        .size:           2
        .value_kind:     hidden_remainder_z
      - .offset:         104
        .size:           8
        .value_kind:     hidden_global_offset_x
      - .offset:         112
        .size:           8
        .value_kind:     hidden_global_offset_y
      - .offset:         120
        .size:           8
        .value_kind:     hidden_global_offset_z
      - .offset:         128
        .size:           2
        .value_kind:     hidden_grid_dims
    .group_segment_fixed_size: 8208
    .kernarg_segment_align: 8
    .kernarg_segment_size: 320
    .language:       OpenCL C
    .language_version:
      - 2
      - 0
    .max_flat_workgroup_size: 256
    .name:           _ZN7rocprim17ROCPRIM_304000_NS6detail35device_block_merge_mergepath_kernelINS1_37wrapped_merge_sort_block_merge_configINS0_14default_configE12hip_bfloat16N2at4cuda3cub6detail10OpaqueTypeILi8EEEEEPS5_SD_PSB_SE_jNS1_19radix_merge_compareILb0ELb0ES5_NS0_19identity_decomposerEEEEEvT0_T1_T2_T3_T4_SM_jT5_PKSM_NS1_7vsmem_tE
    .private_segment_fixed_size: 0
    .sgpr_count:     34
    .sgpr_spill_count: 0
    .symbol:         _ZN7rocprim17ROCPRIM_304000_NS6detail35device_block_merge_mergepath_kernelINS1_37wrapped_merge_sort_block_merge_configINS0_14default_configE12hip_bfloat16N2at4cuda3cub6detail10OpaqueTypeILi8EEEEEPS5_SD_PSB_SE_jNS1_19radix_merge_compareILb0ELb0ES5_NS0_19identity_decomposerEEEEEvT0_T1_T2_T3_T4_SM_jT5_PKSM_NS1_7vsmem_tE.kd
    .uniform_work_group_size: 1
    .uses_dynamic_stack: false
    .vgpr_count:     26
    .vgpr_spill_count: 0
    .wavefront_size: 64
  - .agpr_count:     0
    .args:
      - .address_space:  global
        .offset:         0
        .size:           8
        .value_kind:     global_buffer
      - .address_space:  global
        .offset:         8
        .size:           8
        .value_kind:     global_buffer
      - .address_space:  global
        .offset:         16
        .size:           8
        .value_kind:     global_buffer
      - .address_space:  global
        .offset:         24
        .size:           8
        .value_kind:     global_buffer
      - .offset:         32
        .size:           4
        .value_kind:     by_value
      - .offset:         36
        .size:           4
        .value_kind:     by_value
      - .offset:         40
        .size:           1
        .value_kind:     by_value
    .group_segment_fixed_size: 0
    .kernarg_segment_align: 8
    .kernarg_segment_size: 44
    .language:       OpenCL C
    .language_version:
      - 2
      - 0
    .max_flat_workgroup_size: 256
    .name:           _ZN7rocprim17ROCPRIM_304000_NS6detail33device_block_merge_oddeven_kernelINS1_37wrapped_merge_sort_block_merge_configINS0_14default_configE12hip_bfloat16N2at4cuda3cub6detail10OpaqueTypeILi8EEEEEPS5_SD_PSB_SE_jNS1_19radix_merge_compareILb0ELb0ES5_NS0_19identity_decomposerEEEEEvT0_T1_T2_T3_T4_SM_T5_
    .private_segment_fixed_size: 0
    .sgpr_count:     27
    .sgpr_spill_count: 0
    .symbol:         _ZN7rocprim17ROCPRIM_304000_NS6detail33device_block_merge_oddeven_kernelINS1_37wrapped_merge_sort_block_merge_configINS0_14default_configE12hip_bfloat16N2at4cuda3cub6detail10OpaqueTypeILi8EEEEEPS5_SD_PSB_SE_jNS1_19radix_merge_compareILb0ELb0ES5_NS0_19identity_decomposerEEEEEvT0_T1_T2_T3_T4_SM_T5_.kd
    .uniform_work_group_size: 1
    .uses_dynamic_stack: false
    .vgpr_count:     12
    .vgpr_spill_count: 0
    .wavefront_size: 64
  - .agpr_count:     0
    .args:
      - .address_space:  global
        .offset:         0
        .size:           8
        .value_kind:     global_buffer
      - .address_space:  global
        .offset:         8
        .size:           8
        .value_kind:     global_buffer
      - .offset:         16
        .size:           8
        .value_kind:     by_value
      - .offset:         24
        .size:           8
        .value_kind:     by_value
      - .offset:         32
        .size:           1
        .value_kind:     by_value
      - .offset:         36
        .size:           4
        .value_kind:     by_value
      - .offset:         40
        .size:           4
        .value_kind:     by_value
    .group_segment_fixed_size: 8192
    .kernarg_segment_align: 8
    .kernarg_segment_size: 44
    .language:       OpenCL C
    .language_version:
      - 2
      - 0
    .max_flat_workgroup_size: 256
    .name:           _ZN7rocprim17ROCPRIM_304000_NS6detail26onesweep_histograms_kernelINS1_34wrapped_radix_sort_onesweep_configINS0_14default_configE12hip_bfloat16N2at4cuda3cub6detail10OpaqueTypeILi8EEEEELb0EPKS5_mNS0_19identity_decomposerEEEvT1_PT2_SH_SH_T3_jj
    .private_segment_fixed_size: 0
    .sgpr_count:     44
    .sgpr_spill_count: 0
    .symbol:         _ZN7rocprim17ROCPRIM_304000_NS6detail26onesweep_histograms_kernelINS1_34wrapped_radix_sort_onesweep_configINS0_14default_configE12hip_bfloat16N2at4cuda3cub6detail10OpaqueTypeILi8EEEEELb0EPKS5_mNS0_19identity_decomposerEEEvT1_PT2_SH_SH_T3_jj.kd
    .uniform_work_group_size: 1
    .uses_dynamic_stack: false
    .vgpr_count:     24
    .vgpr_spill_count: 0
    .wavefront_size: 64
  - .agpr_count:     0
    .args:
      - .address_space:  global
        .offset:         0
        .size:           8
        .value_kind:     global_buffer
      - .address_space:  global
        .offset:         8
        .size:           8
        .value_kind:     global_buffer
      - .address_space:  global
        .offset:         16
        .size:           8
        .value_kind:     global_buffer
      - .address_space:  global
        .offset:         24
        .size:           8
        .value_kind:     global_buffer
      - .offset:         32
        .size:           4
        .value_kind:     by_value
      - .address_space:  global
        .offset:         40
        .size:           8
        .value_kind:     global_buffer
      - .address_space:  global
        .offset:         48
        .size:           8
        .value_kind:     global_buffer
      - .address_space:  global
        .offset:         56
        .size:           8
        .value_kind:     global_buffer
      - .offset:         64
        .size:           1
        .value_kind:     by_value
      - .offset:         68
        .size:           4
        .value_kind:     by_value
      - .offset:         72
        .size:           4
        .value_kind:     by_value
      - .offset:         76
        .size:           4
        .value_kind:     by_value
      - .offset:         80
        .size:           4
        .value_kind:     hidden_block_count_x
      - .offset:         84
        .size:           4
        .value_kind:     hidden_block_count_y
      - .offset:         88
        .size:           4
        .value_kind:     hidden_block_count_z
      - .offset:         92
        .size:           2
        .value_kind:     hidden_group_size_x
      - .offset:         94
        .size:           2
        .value_kind:     hidden_group_size_y
      - .offset:         96
        .size:           2
        .value_kind:     hidden_group_size_z
      - .offset:         98
        .size:           2
        .value_kind:     hidden_remainder_x
      - .offset:         100
        .size:           2
        .value_kind:     hidden_remainder_y
      - .offset:         102
        .size:           2
        .value_kind:     hidden_remainder_z
      - .offset:         120
        .size:           8
        .value_kind:     hidden_global_offset_x
      - .offset:         128
        .size:           8
        .value_kind:     hidden_global_offset_y
      - .offset:         136
        .size:           8
        .value_kind:     hidden_global_offset_z
      - .offset:         144
        .size:           2
        .value_kind:     hidden_grid_dims
    .group_segment_fixed_size: 26624
    .kernarg_segment_align: 8
    .kernarg_segment_size: 336
    .language:       OpenCL C
    .language_version:
      - 2
      - 0
    .max_flat_workgroup_size: 256
    .name:           _ZN7rocprim17ROCPRIM_304000_NS6detail25onesweep_iteration_kernelINS1_34wrapped_radix_sort_onesweep_configINS0_14default_configE12hip_bfloat16N2at4cuda3cub6detail10OpaqueTypeILi8EEEEELb0EPKS5_PS5_PKSB_PSB_mNS0_19identity_decomposerEEEvT1_T2_T3_T4_jPT5_SP_PNS1_23onesweep_lookback_stateET6_jjj
    .private_segment_fixed_size: 0
    .sgpr_count:     79
    .sgpr_spill_count: 0
    .symbol:         _ZN7rocprim17ROCPRIM_304000_NS6detail25onesweep_iteration_kernelINS1_34wrapped_radix_sort_onesweep_configINS0_14default_configE12hip_bfloat16N2at4cuda3cub6detail10OpaqueTypeILi8EEEEELb0EPKS5_PS5_PKSB_PSB_mNS0_19identity_decomposerEEEvT1_T2_T3_T4_jPT5_SP_PNS1_23onesweep_lookback_stateET6_jjj.kd
    .uniform_work_group_size: 1
    .uses_dynamic_stack: false
    .vgpr_count:     67
    .vgpr_spill_count: 0
    .wavefront_size: 64
  - .agpr_count:     0
    .args:
      - .address_space:  global
        .offset:         0
        .size:           8
        .value_kind:     global_buffer
      - .address_space:  global
        .offset:         8
        .size:           8
        .value_kind:     global_buffer
      - .address_space:  global
        .offset:         16
        .size:           8
        .value_kind:     global_buffer
      - .address_space:  global
        .offset:         24
        .size:           8
        .value_kind:     global_buffer
      - .offset:         32
        .size:           4
        .value_kind:     by_value
      - .address_space:  global
        .offset:         40
        .size:           8
        .value_kind:     global_buffer
      - .address_space:  global
        .offset:         48
        .size:           8
        .value_kind:     global_buffer
      - .address_space:  global
        .offset:         56
        .size:           8
        .value_kind:     global_buffer
      - .offset:         64
        .size:           1
        .value_kind:     by_value
      - .offset:         68
        .size:           4
        .value_kind:     by_value
      - .offset:         72
        .size:           4
        .value_kind:     by_value
      - .offset:         76
        .size:           4
        .value_kind:     by_value
      - .offset:         80
        .size:           4
        .value_kind:     hidden_block_count_x
      - .offset:         84
        .size:           4
        .value_kind:     hidden_block_count_y
      - .offset:         88
        .size:           4
        .value_kind:     hidden_block_count_z
      - .offset:         92
        .size:           2
        .value_kind:     hidden_group_size_x
      - .offset:         94
        .size:           2
        .value_kind:     hidden_group_size_y
      - .offset:         96
        .size:           2
        .value_kind:     hidden_group_size_z
      - .offset:         98
        .size:           2
        .value_kind:     hidden_remainder_x
      - .offset:         100
        .size:           2
        .value_kind:     hidden_remainder_y
      - .offset:         102
        .size:           2
        .value_kind:     hidden_remainder_z
      - .offset:         120
        .size:           8
        .value_kind:     hidden_global_offset_x
      - .offset:         128
        .size:           8
        .value_kind:     hidden_global_offset_y
      - .offset:         136
        .size:           8
        .value_kind:     hidden_global_offset_z
      - .offset:         144
        .size:           2
        .value_kind:     hidden_grid_dims
    .group_segment_fixed_size: 26624
    .kernarg_segment_align: 8
    .kernarg_segment_size: 336
    .language:       OpenCL C
    .language_version:
      - 2
      - 0
    .max_flat_workgroup_size: 256
    .name:           _ZN7rocprim17ROCPRIM_304000_NS6detail25onesweep_iteration_kernelINS1_34wrapped_radix_sort_onesweep_configINS0_14default_configE12hip_bfloat16N2at4cuda3cub6detail10OpaqueTypeILi8EEEEELb0EPS5_SD_PSB_SE_mNS0_19identity_decomposerEEEvT1_T2_T3_T4_jPT5_SL_PNS1_23onesweep_lookback_stateET6_jjj
    .private_segment_fixed_size: 0
    .sgpr_count:     79
    .sgpr_spill_count: 0
    .symbol:         _ZN7rocprim17ROCPRIM_304000_NS6detail25onesweep_iteration_kernelINS1_34wrapped_radix_sort_onesweep_configINS0_14default_configE12hip_bfloat16N2at4cuda3cub6detail10OpaqueTypeILi8EEEEELb0EPS5_SD_PSB_SE_mNS0_19identity_decomposerEEEvT1_T2_T3_T4_jPT5_SL_PNS1_23onesweep_lookback_stateET6_jjj.kd
    .uniform_work_group_size: 1
    .uses_dynamic_stack: false
    .vgpr_count:     67
    .vgpr_spill_count: 0
    .wavefront_size: 64
amdhsa.target:   amdgcn-amd-amdhsa--gfx90a
amdhsa.version:
  - 1
  - 2
...

	.end_amdgpu_metadata
